;; amdgpu-corpus repo=ROCm/rocFFT kind=compiled arch=gfx950 opt=O3
	.text
	.amdgcn_target "amdgcn-amd-amdhsa--gfx950"
	.amdhsa_code_object_version 6
	.protected	bluestein_single_back_len1690_dim1_sp_op_CI_CI ; -- Begin function bluestein_single_back_len1690_dim1_sp_op_CI_CI
	.globl	bluestein_single_back_len1690_dim1_sp_op_CI_CI
	.p2align	8
	.type	bluestein_single_back_len1690_dim1_sp_op_CI_CI,@function
bluestein_single_back_len1690_dim1_sp_op_CI_CI: ; @bluestein_single_back_len1690_dim1_sp_op_CI_CI
; %bb.0:
	s_load_dwordx4 s[8:11], s[0:1], 0x28
	v_mul_u32_u24_e32 v1, 0x184, v0
	v_add_u32_sdwa v70, s2, v1 dst_sel:DWORD dst_unused:UNUSED_PAD src0_sel:DWORD src1_sel:WORD_1
	v_mov_b32_e32 v71, 0
	s_waitcnt lgkmcnt(0)
	v_cmp_gt_u64_e32 vcc, s[8:9], v[70:71]
	s_and_saveexec_b64 s[2:3], vcc
	s_cbranch_execz .LBB0_23
; %bb.1:
	s_load_dwordx2 s[8:9], s[0:1], 0x0
	s_load_dwordx2 s[12:13], s[0:1], 0x38
	s_movk_i32 s2, 0xa9
	v_mul_lo_u16_sdwa v1, v1, s2 dst_sel:DWORD dst_unused:UNUSED_PAD src0_sel:WORD_1 src1_sel:DWORD
	v_sub_u16_e32 v71, v0, v1
	s_movk_i32 s2, 0x82
	v_cmp_gt_u16_e64 s[2:3], s2, v71
	v_lshlrev_b32_e32 v68, 3, v71
	s_and_saveexec_b64 s[14:15], s[2:3]
	s_cbranch_execz .LBB0_3
; %bb.2:
	s_load_dwordx2 s[4:5], s[0:1], 0x18
	v_mov_b32_e32 v0, s10
	v_mov_b32_e32 v1, s11
	;; [unrolled: 1-line block ×4, first 2 shown]
	s_waitcnt lgkmcnt(0)
	s_load_dwordx4 s[4:7], s[4:5], 0x0
	s_waitcnt lgkmcnt(0)
	v_mad_u64_u32 v[2:3], s[10:11], s6, v70, 0
	v_mad_u64_u32 v[4:5], s[10:11], s4, v71, 0
	v_mov_b32_e32 v6, v3
	v_mov_b32_e32 v8, v5
	v_mad_u64_u32 v[6:7], s[6:7], s7, v70, v[6:7]
	v_mov_b32_e32 v3, v6
	v_mad_u64_u32 v[6:7], s[6:7], s5, v71, v[8:9]
	v_mov_b32_e32 v5, v6
	v_lshl_add_u64 v[0:1], v[2:3], 3, v[0:1]
	v_lshl_add_u64 v[0:1], v[4:5], 3, v[0:1]
	global_load_dwordx2 v[2:3], v[0:1], off
	v_mad_u64_u32 v[0:1], s[6:7], s4, v54, v[0:1]
	s_mul_i32 s10, s5, 0x410
	v_add_u32_e32 v1, s10, v1
	v_mad_u64_u32 v[6:7], s[6:7], s4, v54, v[0:1]
	v_add_u32_e32 v7, s10, v7
	v_mad_u64_u32 v[14:15], s[6:7], s4, v54, v[6:7]
	v_add_u32_e32 v15, s10, v15
	v_mad_u64_u32 v[18:19], s[6:7], s4, v54, v[14:15]
	v_add_u32_e32 v19, s10, v19
	global_load_dwordx2 v[8:9], v68, s[8:9]
	global_load_dwordx2 v[10:11], v68, s[8:9] offset:1040
	global_load_dwordx2 v[12:13], v68, s[8:9] offset:2080
	;; [unrolled: 1-line block ×3, first 2 shown]
	global_load_dwordx2 v[20:21], v[0:1], off
	global_load_dwordx2 v[22:23], v[6:7], off
	;; [unrolled: 1-line block ×4, first 2 shown]
	v_mad_u64_u32 v[6:7], s[6:7], s4, v54, v[18:19]
	v_add_u32_e32 v7, s10, v7
	global_load_dwordx2 v[14:15], v[6:7], off
	v_mad_u64_u32 v[6:7], s[6:7], s4, v54, v[6:7]
	v_lshl_add_u64 v[4:5], s[8:9], 0, v[68:69]
	s_movk_i32 s5, 0x1000
	v_add_u32_e32 v7, s10, v7
	v_add_co_u32_e32 v0, vcc, s5, v4
	global_load_dwordx2 v[18:19], v[6:7], off
	v_mad_u64_u32 v[6:7], s[6:7], s4, v54, v[6:7]
	v_addc_co_u32_e32 v1, vcc, 0, v5, vcc
	v_add_u32_e32 v7, s10, v7
	global_load_dwordx2 v[28:29], v[0:1], off offset:64
	global_load_dwordx2 v[30:31], v[6:7], off
	global_load_dwordx2 v[32:33], v[0:1], off offset:1104
	global_load_dwordx2 v[34:35], v[0:1], off offset:2144
	;; [unrolled: 1-line block ×3, first 2 shown]
	v_mad_u64_u32 v[0:1], s[6:7], s4, v54, v[6:7]
	v_add_u32_e32 v1, s10, v1
	global_load_dwordx2 v[6:7], v[0:1], off
	s_movk_i32 s5, 0x2000
	v_mad_u64_u32 v[0:1], s[6:7], s4, v54, v[0:1]
	v_add_co_u32_e32 v38, vcc, s5, v4
	v_add_u32_e32 v1, s10, v1
	s_nop 0
	v_addc_co_u32_e32 v39, vcc, 0, v5, vcc
	global_load_dwordx2 v[40:41], v[0:1], off
	global_load_dwordx2 v[42:43], v[38:39], off offset:128
	v_mad_u64_u32 v[0:1], s[6:7], s4, v54, v[0:1]
	v_add_u32_e32 v1, s10, v1
	global_load_dwordx2 v[44:45], v[0:1], off
	global_load_dwordx2 v[46:47], v[38:39], off offset:1168
	v_mad_u64_u32 v[0:1], s[6:7], s4, v54, v[0:1]
	v_add_u32_e32 v1, s10, v1
	global_load_dwordx2 v[48:49], v[0:1], off
	global_load_dwordx2 v[50:51], v[38:39], off offset:2208
	global_load_dwordx2 v[52:53], v[38:39], off offset:3248
	v_mad_u64_u32 v[0:1], s[4:5], s4, v54, v[0:1]
	v_add_co_u32_e32 v4, vcc, 0x3000, v4
	v_add_u32_e32 v1, s10, v1
	s_nop 0
	v_addc_co_u32_e32 v5, vcc, 0, v5, vcc
	global_load_dwordx2 v[0:1], v[0:1], off
	s_waitcnt vmcnt(23)
	v_mul_f32_e32 v38, v3, v9
	global_load_dwordx2 v[4:5], v[4:5], off offset:192
	v_fmac_f32_e32 v38, v2, v8
	v_mul_f32_e32 v2, v2, v9
	v_fma_f32 v39, v3, v8, -v2
	s_waitcnt vmcnt(20)
	v_mul_f32_e32 v2, v21, v11
	v_mul_f32_e32 v3, v20, v11
	v_fmac_f32_e32 v2, v20, v10
	v_fma_f32 v3, v21, v10, -v3
	ds_write2_b64 v68, v[38:39], v[2:3] offset1:130
	s_waitcnt vmcnt(19)
	v_mul_f32_e32 v2, v23, v13
	v_mul_f32_e32 v3, v22, v13
	s_waitcnt vmcnt(18)
	v_mul_f32_e32 v8, v25, v17
	v_mul_f32_e32 v9, v24, v17
	v_fmac_f32_e32 v2, v22, v12
	v_fma_f32 v3, v23, v12, -v3
	v_fmac_f32_e32 v8, v24, v16
	v_fma_f32 v9, v25, v16, -v9
	v_add_u32_e32 v10, 0x800, v68
	ds_write2_b64 v10, v[2:3], v[8:9] offset0:4 offset1:134
	v_add_u32_e32 v10, 0x1000, v68
	s_waitcnt vmcnt(12)
	v_mul_f32_e32 v8, v15, v33
	v_mul_f32_e32 v2, v27, v29
	;; [unrolled: 1-line block ×4, first 2 shown]
	v_fmac_f32_e32 v2, v26, v28
	v_fma_f32 v3, v27, v28, -v3
	v_fmac_f32_e32 v8, v14, v32
	v_fma_f32 v9, v15, v32, -v9
	ds_write2_b64 v10, v[2:3], v[8:9] offset0:8 offset1:138
	s_waitcnt vmcnt(11)
	v_mul_f32_e32 v2, v19, v35
	v_mul_f32_e32 v3, v18, v35
	s_waitcnt vmcnt(10)
	v_mul_f32_e32 v8, v31, v37
	v_mul_f32_e32 v9, v30, v37
	v_fmac_f32_e32 v2, v18, v34
	v_fma_f32 v3, v19, v34, -v3
	v_fmac_f32_e32 v8, v30, v36
	v_fma_f32 v9, v31, v36, -v9
	v_add_u32_e32 v10, 0x1800, v68
	ds_write2_b64 v10, v[2:3], v[8:9] offset0:12 offset1:142
	s_waitcnt vmcnt(7)
	v_mul_f32_e32 v2, v7, v43
	v_mul_f32_e32 v3, v6, v43
	v_fmac_f32_e32 v2, v6, v42
	v_fma_f32 v3, v7, v42, -v3
	s_waitcnt vmcnt(5)
	v_mul_f32_e32 v6, v41, v47
	v_mul_f32_e32 v7, v40, v47
	v_fmac_f32_e32 v6, v40, v46
	v_fma_f32 v7, v41, v46, -v7
	v_add_u32_e32 v8, 0x2000, v68
	ds_write2_b64 v8, v[2:3], v[6:7] offset0:16 offset1:146
	s_waitcnt vmcnt(3)
	v_mul_f32_e32 v2, v45, v51
	v_mul_f32_e32 v3, v44, v51
	s_waitcnt vmcnt(2)
	v_mul_f32_e32 v6, v49, v53
	v_mul_f32_e32 v7, v48, v53
	v_fmac_f32_e32 v2, v44, v50
	v_fma_f32 v3, v45, v50, -v3
	v_fmac_f32_e32 v6, v48, v52
	v_fma_f32 v7, v49, v52, -v7
	v_add_u32_e32 v8, 0x2800, v68
	ds_write2_b64 v8, v[2:3], v[6:7] offset0:20 offset1:150
	s_waitcnt vmcnt(0)
	v_mul_f32_e32 v2, v1, v5
	v_fmac_f32_e32 v2, v0, v4
	v_mul_f32_e32 v0, v0, v5
	v_fma_f32 v3, v1, v4, -v0
	ds_write_b64 v68, v[2:3] offset:12480
.LBB0_3:
	s_or_b64 exec, exec, s[14:15]
	s_load_dwordx2 s[4:5], s[0:1], 0x20
	s_load_dwordx2 s[10:11], s[0:1], 0x8
	v_mov_b64_e32 v[0:1], 0
	s_waitcnt lgkmcnt(0)
	s_barrier
	s_waitcnt lgkmcnt(0)
                                        ; implicit-def: $vgpr6
                                        ; implicit-def: $vgpr12
                                        ; implicit-def: $vgpr10
                                        ; implicit-def: $vgpr20
                                        ; implicit-def: $vgpr18
                                        ; implicit-def: $vgpr44
	s_and_saveexec_b64 s[0:1], s[2:3]
	s_cbranch_execz .LBB0_5
; %bb.4:
	v_add_u32_e32 v4, 0x800, v68
	ds_read2_b64 v[16:19], v4 offset0:4 offset1:134
	v_add_u32_e32 v4, 0x1000, v68
	ds_read2_b64 v[8:11], v4 offset0:8 offset1:138
	v_add_u32_e32 v4, 0x1800, v68
	v_add_u32_e32 v12, 0x2000, v68
	;; [unrolled: 1-line block ×3, first 2 shown]
	ds_read2_b64 v[0:3], v68 offset1:130
	ds_read2_b64 v[4:7], v4 offset0:12 offset1:142
	ds_read2_b64 v[12:15], v12 offset0:16 offset1:146
	;; [unrolled: 1-line block ×3, first 2 shown]
	ds_read_b64 v[44:45], v68 offset:12480
.LBB0_5:
	s_or_b64 exec, exec, s[0:1]
	s_waitcnt lgkmcnt(0)
	v_pk_add_f32 v[38:39], v[2:3], v[44:45] neg_lo:[0,1] neg_hi:[0,1]
	s_mov_b32 s26, 0xbf7e222b
	v_pk_add_f32 v[36:37], v[44:45], v[2:3]
	v_pk_add_f32 v[34:35], v[16:17], v[22:23] neg_lo:[0,1] neg_hi:[0,1]
	s_mov_b32 s0, 0x3df6dbef
	v_pk_mul_f32 v[40:41], v[38:39], s[26:27] op_sel_hi:[1,0]
	s_mov_b32 s16, 0xbe750f2a
	v_pk_add_f32 v[32:33], v[22:23], v[16:17]
	v_pk_fma_f32 v[54:55], v[36:37], s[0:1], v[40:41] op_sel:[0,0,1] op_sel_hi:[1,0,0]
	v_pk_fma_f32 v[56:57], v[36:37], s[0:1], v[40:41] op_sel:[0,0,1] op_sel_hi:[1,0,0] neg_lo:[0,0,1] neg_hi:[0,0,1]
	s_mov_b32 s14, 0xbf788fa5
	v_pk_mul_f32 v[42:43], v[34:35], s[16:17] op_sel_hi:[1,0]
	v_mov_b32_e32 v40, v54
	v_mov_b32_e32 v41, v57
	v_pk_fma_f32 v[58:59], v[32:33], s[14:15], v[42:43] op_sel:[0,0,1] op_sel_hi:[1,0,0]
	v_pk_fma_f32 v[60:61], v[32:33], s[14:15], v[42:43] op_sel:[0,0,1] op_sel_hi:[1,0,0] neg_lo:[0,0,1] neg_hi:[0,0,1]
	v_pk_add_f32 v[30:31], v[18:19], v[20:21] neg_lo:[0,1] neg_hi:[0,1]
	v_pk_add_f32 v[40:41], v[40:41], v[0:1]
	v_mov_b32_e32 v42, v58
	v_mov_b32_e32 v43, v61
	s_mov_b32 s18, 0x3f6f5d39
	v_pk_add_f32 v[28:29], v[20:21], v[18:19]
	v_pk_add_f32 v[40:41], v[42:43], v[40:41]
	s_mov_b32 s6, 0xbeb58ec6
	v_pk_mul_f32 v[42:43], v[30:31], s[18:19] op_sel_hi:[1,0]
	v_pk_add_f32 v[26:27], v[8:9], v[14:15] neg_lo:[0,1] neg_hi:[0,1]
	v_pk_fma_f32 v[62:63], v[28:29], s[6:7], v[42:43] op_sel:[0,0,1] op_sel_hi:[1,0,0]
	v_pk_fma_f32 v[66:67], v[28:29], s[6:7], v[42:43] op_sel:[0,0,1] op_sel_hi:[1,0,0] neg_lo:[0,0,1] neg_hi:[0,0,1]
	v_mov_b32_e32 v42, v62
	v_mov_b32_e32 v43, v67
	s_mov_b32 s20, 0x3eedf032
	v_pk_add_f32 v[24:25], v[14:15], v[8:9]
	v_pk_add_f32 v[40:41], v[42:43], v[40:41]
	s_mov_b32 s18, 0x3f62ad3f
	v_pk_mul_f32 v[42:43], v[26:27], s[20:21] op_sel_hi:[1,0]
	s_mov_b32 s28, 0xbf52af12
	v_pk_fma_f32 v[72:73], v[24:25], s[18:19], v[42:43] op_sel:[0,0,1] op_sel_hi:[1,0,0]
	v_pk_fma_f32 v[74:75], v[24:25], s[18:19], v[42:43] op_sel:[0,0,1] op_sel_hi:[1,0,0] neg_lo:[0,0,1] neg_hi:[0,0,1]
	v_mov_b32_e32 v42, v72
	v_mov_b32_e32 v43, v75
	v_pk_add_f32 v[40:41], v[42:43], v[40:41]
	s_mov_b32 s22, 0x3f116cb1
	s_mov_b32 s24, 0xbf6f5d39
	v_pk_mul_f32 v[42:43], v[38:39], s[28:29] op_sel_hi:[1,0]
	v_pk_mul_f32 v[46:47], v[34:35], s[24:25] op_sel_hi:[1,0]
	v_pk_fma_f32 v[76:77], v[36:37], s[22:23], v[42:43] op_sel:[0,0,1] op_sel_hi:[1,0,0]
	v_pk_fma_f32 v[78:79], v[36:37], s[22:23], v[42:43] op_sel:[0,0,1] op_sel_hi:[1,0,0] neg_lo:[0,0,1] neg_hi:[0,0,1]
	v_mov_b32_e32 v42, v76
	v_mov_b32_e32 v43, v79
	v_pk_fma_f32 v[80:81], v[32:33], s[6:7], v[46:47] op_sel:[0,0,1] op_sel_hi:[1,0,0]
	v_pk_fma_f32 v[82:83], v[32:33], s[6:7], v[46:47] op_sel:[0,0,1] op_sel_hi:[1,0,0] neg_lo:[0,0,1] neg_hi:[0,0,1]
	v_mov_b32_e32 v46, v80
	v_mov_b32_e32 v47, v83
	v_pk_add_f32 v[42:43], v[42:43], v[0:1]
	s_mov_b32 s40, 0x3f29c268
	v_pk_add_f32 v[42:43], v[46:47], v[42:43]
	v_pk_mul_f32 v[46:47], v[30:31], s[16:17] op_sel_hi:[1,0]
	s_mov_b32 s36, 0xbf3f9e67
	v_pk_fma_f32 v[88:89], v[28:29], s[14:15], v[46:47] op_sel:[0,0,1] op_sel_hi:[1,0,0]
	v_pk_fma_f32 v[90:91], v[28:29], s[14:15], v[46:47] op_sel:[0,0,1] op_sel_hi:[1,0,0] neg_lo:[0,0,1] neg_hi:[0,0,1]
	v_mov_b32_e32 v46, v88
	v_mov_b32_e32 v47, v91
	v_pk_add_f32 v[42:43], v[46:47], v[42:43]
	v_pk_mul_f32 v[46:47], v[26:27], s[40:41] op_sel_hi:[1,0]
	s_mov_b32 s34, 0x3f7e222b
	v_pk_fma_f32 v[92:93], v[24:25], s[36:37], v[46:47] op_sel:[0,0,1] op_sel_hi:[1,0,0]
	v_pk_fma_f32 v[94:95], v[24:25], s[36:37], v[46:47] op_sel:[0,0,1] op_sel_hi:[1,0,0] neg_lo:[0,0,1] neg_hi:[0,0,1]
	v_mov_b32_e32 v46, v92
	v_mov_b32_e32 v47, v95
	v_pk_add_f32 v[48:49], v[10:11], v[12:13] neg_lo:[0,1] neg_hi:[0,1]
	v_pk_add_f32 v[42:43], v[46:47], v[42:43]
	v_pk_add_f32 v[46:47], v[12:13], v[10:11]
	v_pk_mul_f32 v[50:51], v[48:49], s[34:35] op_sel_hi:[1,0]
	v_pk_add_f32 v[52:53], v[4:5], v[6:7] neg_lo:[0,1] neg_hi:[0,1]
	v_pk_fma_f32 v[100:101], v[46:47], s[0:1], v[50:51] op_sel:[0,0,1] op_sel_hi:[1,0,0]
	v_pk_fma_f32 v[102:103], v[46:47], s[0:1], v[50:51] op_sel:[0,0,1] op_sel_hi:[1,0,0] neg_lo:[0,0,1] neg_hi:[0,0,1]
	v_mov_b32_e32 v50, v100
	v_mov_b32_e32 v51, v103
	v_pk_add_f32 v[42:43], v[50:51], v[42:43]
	v_pk_mul_f32 v[50:51], v[48:49], s[28:29] op_sel_hi:[1,0]
	v_pk_mul_f32 v[64:65], v[52:53], s[20:21] op_sel_hi:[1,0]
	v_pk_fma_f32 v[84:85], v[46:47], s[22:23], v[50:51] op_sel:[0,0,1] op_sel_hi:[1,0,0]
	v_pk_fma_f32 v[86:87], v[46:47], s[22:23], v[50:51] op_sel:[0,0,1] op_sel_hi:[1,0,0] neg_lo:[0,0,1] neg_hi:[0,0,1]
	v_mov_b32_e32 v50, v84
	v_mov_b32_e32 v51, v87
	v_pk_add_f32 v[40:41], v[50:51], v[40:41]
	v_pk_add_f32 v[50:51], v[6:7], v[4:5]
	s_mov_b32 s38, 0xbf29c268
	v_pk_fma_f32 v[104:105], v[50:51], s[18:19], v[64:65] op_sel:[0,0,1] op_sel_hi:[1,0,0]
	v_pk_fma_f32 v[106:107], v[50:51], s[18:19], v[64:65] op_sel:[0,0,1] op_sel_hi:[1,0,0] neg_lo:[0,0,1] neg_hi:[0,0,1]
	v_mov_b32_e32 v64, v104
	v_mov_b32_e32 v65, v107
	v_pk_add_f32 v[42:43], v[64:65], v[42:43]
	v_pk_mul_f32 v[64:65], v[52:53], s[38:39] op_sel_hi:[1,0]
	s_mov_b32 s30, 0xbeedf032
	v_pk_fma_f32 v[96:97], v[50:51], s[36:37], v[64:65] op_sel:[0,0,1] op_sel_hi:[1,0,0]
	v_pk_fma_f32 v[98:99], v[50:51], s[36:37], v[64:65] op_sel:[0,0,1] op_sel_hi:[1,0,0] neg_lo:[0,0,1] neg_hi:[0,0,1]
	v_mov_b32_e32 v64, v96
	v_mov_b32_e32 v65, v99
	v_pk_add_f32 v[40:41], v[64:65], v[40:41]
	v_pk_mul_f32 v[64:65], v[38:39], s[30:31] op_sel_hi:[1,0]
	v_pk_mul_f32 v[114:115], v[34:35], s[28:29] op_sel_hi:[1,0]
	v_pk_fma_f32 v[108:109], v[36:37], s[18:19], v[64:65] op_sel:[0,0,1] op_sel_hi:[1,0,0]
	v_pk_fma_f32 v[110:111], v[36:37], s[18:19], v[64:65] op_sel:[0,0,1] op_sel_hi:[1,0,0] neg_lo:[0,0,1] neg_hi:[0,0,1]
	v_mov_b32_e32 v64, v108
	v_mov_b32_e32 v65, v111
	v_pk_fma_f32 v[112:113], v[32:33], s[22:23], v[114:115] op_sel:[0,0,1] op_sel_hi:[1,0,0]
	v_pk_fma_f32 v[114:115], v[32:33], s[22:23], v[114:115] op_sel:[0,0,1] op_sel_hi:[1,0,0] neg_lo:[0,0,1] neg_hi:[0,0,1]
	v_mov_b32_e32 v116, v112
	v_mov_b32_e32 v117, v115
	v_pk_add_f32 v[64:65], v[64:65], v[0:1]
	v_pk_mul_f32 v[118:119], v[30:31], s[26:27] op_sel_hi:[1,0]
	v_pk_add_f32 v[64:65], v[116:117], v[64:65]
	v_pk_fma_f32 v[116:117], v[28:29], s[0:1], v[118:119] op_sel:[0,0,1] op_sel_hi:[1,0,0]
	v_pk_fma_f32 v[118:119], v[28:29], s[0:1], v[118:119] op_sel:[0,0,1] op_sel_hi:[1,0,0] neg_lo:[0,0,1] neg_hi:[0,0,1]
	v_mov_b32_e32 v120, v116
	v_mov_b32_e32 v121, v119
	v_pk_mul_f32 v[122:123], v[26:27], s[24:25] op_sel_hi:[1,0]
	v_pk_add_f32 v[64:65], v[120:121], v[64:65]
	v_pk_fma_f32 v[120:121], v[24:25], s[6:7], v[122:123] op_sel:[0,0,1] op_sel_hi:[1,0,0]
	v_pk_fma_f32 v[122:123], v[24:25], s[6:7], v[122:123] op_sel:[0,0,1] op_sel_hi:[1,0,0] neg_lo:[0,0,1] neg_hi:[0,0,1]
	v_mov_b32_e32 v124, v120
	v_mov_b32_e32 v125, v123
	;; [unrolled: 6-line block ×4, first 2 shown]
	v_pk_add_f32 v[64:65], v[132:133], v[64:65]
	v_mul_lo_u16_e32 v185, 13, v71
	s_barrier
	s_and_saveexec_b64 s[30:31], s[2:3]
	s_cbranch_execz .LBB0_7
; %bb.6:
	v_pk_add_f32 v[2:3], v[2:3], v[0:1]
	v_mov_b32_e32 v111, v109
	v_pk_add_f32 v[2:3], v[16:17], v[2:3]
	v_mov_b32_e32 v115, v113
	;; [unrolled: 2-line block ×5, first 2 shown]
	v_pk_add_f32 v[2:3], v[4:5], v[2:3]
	v_pk_add_f32 v[4:5], v[110:111], v[0:1]
	;; [unrolled: 1-line block ×11, first 2 shown]
	v_mov_b32_e32 v131, v129
	v_lshlrev_b32_e32 v69, 3, v185
	v_pk_add_f32 v[2:3], v[44:45], v[2:3]
	v_pk_add_f32 v[4:5], v[130:131], v[4:5]
	v_mov_b32_e32 v79, v77
	v_mov_b32_e32 v57, v55
	ds_write2_b64 v69, v[2:3], v[4:5] offset1:1
	v_pk_add_f32 v[2:3], v[78:79], v[0:1]
	v_mov_b32_e32 v83, v81
	v_pk_add_f32 v[4:5], v[56:57], v[0:1]
	v_mov_b32_e32 v61, v59
	;; [unrolled: 2-line block ×10, first 2 shown]
	v_pk_add_f32 v[2:3], v[106:107], v[2:3]
	v_pk_add_f32 v[4:5], v[98:99], v[4:5]
	ds_write2_b64 v69, v[2:3], v[4:5] offset0:2 offset1:3
	v_pk_mul_f32 v[2:3], v[38:39], s[24:25] op_sel_hi:[1,0]
	v_pk_mul_f32 v[8:9], v[34:35], s[40:41] op_sel_hi:[1,0]
	v_pk_fma_f32 v[4:5], v[36:37], s[6:7], v[2:3] op_sel:[0,0,1] op_sel_hi:[1,0,0] neg_lo:[0,0,1] neg_hi:[0,0,1]
	v_pk_fma_f32 v[2:3], v[36:37], s[6:7], v[2:3] op_sel:[0,0,1] op_sel_hi:[1,0,0]
	v_mov_b32_e32 v6, v4
	v_mov_b32_e32 v7, v3
	v_pk_fma_f32 v[10:11], v[32:33], s[36:37], v[8:9] op_sel:[0,0,1] op_sel_hi:[1,0,0] neg_lo:[0,0,1] neg_hi:[0,0,1]
	v_pk_fma_f32 v[8:9], v[32:33], s[36:37], v[8:9] op_sel:[0,0,1] op_sel_hi:[1,0,0]
	v_pk_add_f32 v[6:7], v[6:7], v[0:1]
	v_mov_b32_e32 v12, v10
	v_mov_b32_e32 v13, v9
	v_pk_add_f32 v[6:7], v[12:13], v[6:7]
	v_pk_mul_f32 v[12:13], v[30:31], s[20:21] op_sel_hi:[1,0]
	s_mov_b32 s40, 0x3f52af12
	v_pk_fma_f32 v[14:15], v[28:29], s[18:19], v[12:13] op_sel:[0,0,1] op_sel_hi:[1,0,0] neg_lo:[0,0,1] neg_hi:[0,0,1]
	v_pk_fma_f32 v[12:13], v[28:29], s[18:19], v[12:13] op_sel:[0,0,1] op_sel_hi:[1,0,0]
	v_mov_b32_e32 v16, v14
	v_mov_b32_e32 v17, v13
	v_pk_add_f32 v[6:7], v[16:17], v[6:7]
	v_pk_mul_f32 v[16:17], v[26:27], s[26:27] op_sel_hi:[1,0]
	s_mov_b32 s26, 0x3e750f2a
	v_pk_fma_f32 v[18:19], v[24:25], s[0:1], v[16:17] op_sel:[0,0,1] op_sel_hi:[1,0,0] neg_lo:[0,0,1] neg_hi:[0,0,1]
	v_pk_fma_f32 v[16:17], v[24:25], s[0:1], v[16:17] op_sel:[0,0,1] op_sel_hi:[1,0,0]
	v_mov_b32_e32 v20, v18
	v_mov_b32_e32 v21, v17
	v_pk_add_f32 v[6:7], v[20:21], v[6:7]
	v_pk_mul_f32 v[20:21], v[48:49], s[26:27] op_sel_hi:[1,0]
	v_pk_mul_f32 v[62:63], v[34:35], s[34:35] op_sel_hi:[1,0]
	v_pk_fma_f32 v[22:23], v[46:47], s[14:15], v[20:21] op_sel:[0,0,1] op_sel_hi:[1,0,0] neg_lo:[0,0,1] neg_hi:[0,0,1]
	v_pk_fma_f32 v[20:21], v[46:47], s[14:15], v[20:21] op_sel:[0,0,1] op_sel_hi:[1,0,0]
	v_mov_b32_e32 v44, v22
	v_mov_b32_e32 v45, v21
	v_pk_add_f32 v[6:7], v[44:45], v[6:7]
	v_pk_mul_f32 v[44:45], v[52:53], s[40:41] op_sel_hi:[1,0]
	v_pk_fma_f32 v[66:67], v[32:33], s[0:1], v[62:63] op_sel:[0,0,1] op_sel_hi:[1,0,0] neg_lo:[0,0,1] neg_hi:[0,0,1]
	v_pk_fma_f32 v[54:55], v[50:51], s[22:23], v[44:45] op_sel:[0,0,1] op_sel_hi:[1,0,0] neg_lo:[0,0,1] neg_hi:[0,0,1]
	v_pk_fma_f32 v[44:45], v[50:51], s[22:23], v[44:45] op_sel:[0,0,1] op_sel_hi:[1,0,0]
	v_mov_b32_e32 v56, v54
	v_mov_b32_e32 v57, v45
	v_pk_add_f32 v[6:7], v[56:57], v[6:7]
	v_pk_mul_f32 v[56:57], v[38:39], s[38:39] op_sel_hi:[1,0]
	v_pk_fma_f32 v[62:63], v[32:33], s[0:1], v[62:63] op_sel:[0,0,1] op_sel_hi:[1,0,0]
	v_pk_fma_f32 v[58:59], v[36:37], s[36:37], v[56:57] op_sel:[0,0,1] op_sel_hi:[1,0,0] neg_lo:[0,0,1] neg_hi:[0,0,1]
	v_pk_fma_f32 v[56:57], v[36:37], s[36:37], v[56:57] op_sel:[0,0,1] op_sel_hi:[1,0,0]
	v_mov_b32_e32 v60, v58
	v_mov_b32_e32 v61, v57
	v_pk_add_f32 v[60:61], v[60:61], v[0:1]
	v_mov_b32_e32 v72, v66
	v_mov_b32_e32 v73, v63
	v_pk_add_f32 v[60:61], v[72:73], v[60:61]
	v_pk_mul_f32 v[72:73], v[30:31], s[28:29] op_sel_hi:[1,0]
	v_pk_mul_f32 v[34:35], v[34:35], s[20:21] op_sel_hi:[1,0]
	v_pk_fma_f32 v[74:75], v[28:29], s[22:23], v[72:73] op_sel:[0,0,1] op_sel_hi:[1,0,0] neg_lo:[0,0,1] neg_hi:[0,0,1]
	v_pk_fma_f32 v[72:73], v[28:29], s[22:23], v[72:73] op_sel:[0,0,1] op_sel_hi:[1,0,0]
	v_mov_b32_e32 v76, v74
	v_mov_b32_e32 v77, v73
	v_pk_add_f32 v[60:61], v[76:77], v[60:61]
	v_pk_mul_f32 v[76:77], v[26:27], s[26:27] op_sel_hi:[1,0]
	v_pk_mul_f32 v[30:31], v[30:31], s[38:39] op_sel_hi:[1,0]
	v_pk_fma_f32 v[78:79], v[24:25], s[14:15], v[76:77] op_sel:[0,0,1] op_sel_hi:[1,0,0] neg_lo:[0,0,1] neg_hi:[0,0,1]
	v_pk_fma_f32 v[76:77], v[24:25], s[14:15], v[76:77] op_sel:[0,0,1] op_sel_hi:[1,0,0]
	;; [unrolled: 7-line block ×3, first 2 shown]
	v_mov_b32_e32 v84, v82
	v_mov_b32_e32 v85, v81
	v_pk_add_f32 v[60:61], v[84:85], v[60:61]
	v_pk_mul_f32 v[84:85], v[52:53], s[24:25] op_sel_hi:[1,0]
	v_mov_b32_e32 v57, v59
	v_pk_fma_f32 v[86:87], v[50:51], s[6:7], v[84:85] op_sel:[0,0,1] op_sel_hi:[1,0,0] neg_lo:[0,0,1] neg_hi:[0,0,1]
	v_pk_fma_f32 v[84:85], v[50:51], s[6:7], v[84:85] op_sel:[0,0,1] op_sel_hi:[1,0,0]
	v_mov_b32_e32 v88, v86
	v_mov_b32_e32 v89, v85
	v_pk_add_f32 v[60:61], v[88:89], v[60:61]
	ds_write2_b64 v69, v[6:7], v[60:61] offset0:4 offset1:5
	v_pk_mul_f32 v[6:7], v[38:39], s[16:17] op_sel_hi:[1,0]
	v_pk_fma_f32 v[60:61], v[32:33], s[18:19], v[34:35] op_sel:[0,0,1] op_sel_hi:[1,0,0] neg_lo:[0,0,1] neg_hi:[0,0,1]
	v_pk_fma_f32 v[38:39], v[36:37], s[14:15], v[6:7] op_sel:[0,0,1] op_sel_hi:[1,0,0] neg_lo:[0,0,1] neg_hi:[0,0,1]
	v_pk_fma_f32 v[6:7], v[36:37], s[14:15], v[6:7] op_sel:[0,0,1] op_sel_hi:[1,0,0]
	v_mov_b32_e32 v36, v38
	v_mov_b32_e32 v37, v7
	v_pk_fma_f32 v[32:33], v[32:33], s[18:19], v[34:35] op_sel:[0,0,1] op_sel_hi:[1,0,0]
	v_pk_add_f32 v[36:37], v[36:37], v[0:1]
	v_mov_b32_e32 v34, v60
	v_mov_b32_e32 v35, v33
	v_pk_add_f32 v[34:35], v[34:35], v[36:37]
	v_pk_fma_f32 v[36:37], v[28:29], s[36:37], v[30:31] op_sel:[0,0,1] op_sel_hi:[1,0,0] neg_lo:[0,0,1] neg_hi:[0,0,1]
	v_pk_fma_f32 v[28:29], v[28:29], s[36:37], v[30:31] op_sel:[0,0,1] op_sel_hi:[1,0,0]
	v_mov_b32_e32 v30, v36
	v_mov_b32_e32 v31, v29
	v_pk_add_f32 v[30:31], v[30:31], v[34:35]
	v_pk_fma_f32 v[34:35], v[24:25], s[22:23], v[26:27] op_sel:[0,0,1] op_sel_hi:[1,0,0] neg_lo:[0,0,1] neg_hi:[0,0,1]
	v_pk_fma_f32 v[24:25], v[24:25], s[22:23], v[26:27] op_sel:[0,0,1] op_sel_hi:[1,0,0]
	v_mov_b32_e32 v26, v34
	v_mov_b32_e32 v27, v25
	v_pk_add_f32 v[26:27], v[26:27], v[30:31]
	v_pk_mul_f32 v[30:31], v[48:49], s[24:25] op_sel_hi:[1,0]
	v_mov_b32_e32 v7, v39
	v_pk_fma_f32 v[48:49], v[46:47], s[6:7], v[30:31] op_sel:[0,0,1] op_sel_hi:[1,0,0] neg_lo:[0,0,1] neg_hi:[0,0,1]
	v_pk_fma_f32 v[30:31], v[46:47], s[6:7], v[30:31] op_sel:[0,0,1] op_sel_hi:[1,0,0]
	v_pk_add_f32 v[6:7], v[6:7], v[0:1]
	v_mov_b32_e32 v33, v61
	v_mov_b32_e32 v46, v48
	;; [unrolled: 1-line block ×3, first 2 shown]
	v_pk_add_f32 v[6:7], v[32:33], v[6:7]
	v_mov_b32_e32 v29, v37
	v_pk_add_f32 v[26:27], v[46:47], v[26:27]
	v_pk_mul_f32 v[46:47], v[52:53], s[34:35] op_sel_hi:[1,0]
	v_pk_add_f32 v[6:7], v[28:29], v[6:7]
	v_mov_b32_e32 v25, v35
	v_pk_fma_f32 v[52:53], v[50:51], s[0:1], v[46:47] op_sel:[0,0,1] op_sel_hi:[1,0,0] neg_lo:[0,0,1] neg_hi:[0,0,1]
	v_pk_fma_f32 v[46:47], v[50:51], s[0:1], v[46:47] op_sel:[0,0,1] op_sel_hi:[1,0,0]
	v_pk_add_f32 v[6:7], v[24:25], v[6:7]
	v_mov_b32_e32 v31, v49
	v_mov_b32_e32 v50, v52
	;; [unrolled: 1-line block ×3, first 2 shown]
	v_pk_add_f32 v[6:7], v[30:31], v[6:7]
	v_mov_b32_e32 v47, v53
	v_pk_add_f32 v[26:27], v[50:51], v[26:27]
	v_pk_add_f32 v[6:7], v[46:47], v[6:7]
	v_mov_b32_e32 v3, v5
	ds_write2_b64 v69, v[26:27], v[6:7] offset0:6 offset1:7
	v_pk_add_f32 v[6:7], v[56:57], v[0:1]
	v_mov_b32_e32 v63, v67
	v_pk_add_f32 v[0:1], v[2:3], v[0:1]
	v_mov_b32_e32 v9, v11
	;; [unrolled: 2-line block ×10, first 2 shown]
	v_pk_add_f32 v[6:7], v[84:85], v[6:7]
	v_pk_add_f32 v[0:1], v[44:45], v[0:1]
	ds_write2_b64 v69, v[6:7], v[0:1] offset0:8 offset1:9
	ds_write2_b64 v69, v[40:41], v[42:43] offset0:10 offset1:11
	ds_write_b64 v69, v[64:65] offset:96
.LBB0_7:
	s_or_b64 exec, exec, s[30:31]
	s_movk_i32 s0, 0x4f
	v_mul_lo_u16_sdwa v0, v71, s0 dst_sel:DWORD dst_unused:UNUSED_PAD src0_sel:BYTE_0 src1_sel:DWORD
	v_lshrrev_b16_e32 v69, 10, v0
	v_mul_lo_u16_e32 v0, 13, v69
	v_sub_u16_e32 v0, v71, v0
	v_and_b32_e32 v80, 0xff, v0
	s_movk_i32 s0, 0x48
	v_mov_b64_e32 v[0:1], s[10:11]
	v_mad_u64_u32 v[16:17], s[0:1], v80, s0, v[0:1]
	s_load_dwordx4 s[4:7], s[4:5], 0x0
	s_waitcnt lgkmcnt(0)
	s_barrier
	global_load_dwordx4 v[8:11], v[16:17], off
	global_load_dwordx4 v[4:7], v[16:17], off offset:16
	global_load_dwordx4 v[0:3], v[16:17], off offset:32
	;; [unrolled: 1-line block ×3, first 2 shown]
	global_load_dwordx2 v[72:73], v[16:17], off offset:64
	ds_read2_b64 v[18:21], v68 offset1:169
	v_add_u32_e32 v17, 0x800, v68
	v_add_u32_e32 v26, 0x1400, v68
	v_add_u32_e32 v30, 0x1e00, v68
	v_add_u32_e32 v16, 0x2800, v68
	ds_read2_b64 v[22:25], v17 offset0:82 offset1:251
	ds_read2_b64 v[26:29], v26 offset0:36 offset1:205
	;; [unrolled: 1-line block ×4, first 2 shown]
	s_mov_b32 s14, 0x3f737871
	s_mov_b32 s15, 0xbf737871
	;; [unrolled: 1-line block ×6, first 2 shown]
	s_waitcnt lgkmcnt(0)
	s_barrier
	s_waitcnt vmcnt(4)
	v_pk_mul_f32 v[38:39], v[20:21], v[8:9] op_sel_hi:[1,0]
	v_mov_b32_e32 v44, v11
	s_waitcnt vmcnt(3)
	v_pk_mul_f32 v[46:47], v[24:25], v[4:5] op_sel_hi:[1,0]
	v_mov_b32_e32 v48, v7
	;; [unrolled: 3-line block ×4, first 2 shown]
	v_pk_fma_f32 v[62:63], v[20:21], v[8:9], v[38:39] op_sel:[0,1,1] op_sel_hi:[1,1,0]
	v_pk_fma_f32 v[20:21], v[20:21], v[8:9], v[38:39] op_sel:[0,1,1] op_sel_hi:[1,1,0] neg_lo:[1,0,0] neg_hi:[1,0,0]
	v_pk_mul_f32 v[38:39], v[22:23], v[44:45] op_sel_hi:[1,0]
	v_pk_fma_f32 v[66:67], v[24:25], v[4:5], v[46:47] op_sel:[0,1,1] op_sel_hi:[1,1,0]
	v_pk_fma_f32 v[24:25], v[24:25], v[4:5], v[46:47] op_sel:[0,1,1] op_sel_hi:[1,1,0] neg_lo:[1,0,0] neg_hi:[1,0,0]
	v_pk_mul_f32 v[44:45], v[26:27], v[48:49] op_sel_hi:[1,0]
	;; [unrolled: 3-line block ×4, first 2 shown]
	v_mov_b32_e32 v67, v25
	v_pk_fma_f32 v[24:25], v[26:27], v[6:7], v[44:45] op_sel:[0,0,1] op_sel_hi:[1,1,0] neg_lo:[0,0,1] neg_hi:[0,0,1]
	v_pk_fma_f32 v[26:27], v[26:27], v[6:7], v[44:45] op_sel:[0,0,1] op_sel_hi:[1,0,0]
	v_mov_b32_e32 v49, v29
	v_pk_fma_f32 v[28:29], v[30:31], v[2:3], v[46:47] op_sel:[0,0,1] op_sel_hi:[1,1,0] neg_lo:[0,0,1] neg_hi:[0,0,1]
	v_pk_fma_f32 v[30:31], v[30:31], v[2:3], v[46:47] op_sel:[0,0,1] op_sel_hi:[1,0,0]
	;; [unrolled: 3-line block ×4, first 2 shown]
	v_mov_b32_e32 v25, v27
	v_mov_b32_e32 v29, v31
	s_waitcnt vmcnt(0)
	v_pk_mul_f32 v[58:59], v[36:37], v[72:73] op_sel_hi:[1,0]
	v_mov_b32_e32 v60, v73
	v_mov_b32_e32 v21, v23
	;; [unrolled: 1-line block ×3, first 2 shown]
	v_pk_add_f32 v[38:39], v[24:25], v[28:29]
	v_pk_fma_f32 v[54:55], v[36:37], v[60:61], v[58:59] op_sel:[0,0,1] op_sel_hi:[1,1,0]
	v_pk_fma_f32 v[36:37], v[36:37], v[72:73], v[58:59] op_sel:[0,1,1] op_sel_hi:[1,1,0] neg_lo:[1,0,0] neg_hi:[1,0,0]
	v_pk_add_f32 v[52:53], v[20:21], v[32:33] neg_lo:[0,1] neg_hi:[0,1]
	v_pk_add_f32 v[44:45], v[20:21], v[24:25] neg_lo:[0,1] neg_hi:[0,1]
	;; [unrolled: 1-line block ×3, first 2 shown]
	v_pk_add_f32 v[58:59], v[18:19], v[20:21]
	v_pk_fma_f32 v[38:39], v[38:39], 0.5, v[18:19] op_sel_hi:[1,0,1] neg_lo:[1,0,0] neg_hi:[1,0,0]
	v_pk_add_f32 v[56:57], v[24:25], v[28:29] neg_lo:[0,1] neg_hi:[0,1]
	v_pk_add_f32 v[46:47], v[44:45], v[46:47]
	v_pk_add_f32 v[44:45], v[58:59], v[24:25]
	v_pk_fma_f32 v[58:59], v[52:53], s[14:15], v[38:39] op_sel:[1,0,0] op_sel_hi:[0,0,1] neg_lo:[1,0,0] neg_hi:[1,0,0]
	v_pk_fma_f32 v[38:39], v[52:53], s[14:15], v[38:39] op_sel:[1,0,0] op_sel_hi:[0,0,1]
	v_mov_b32_e32 v55, v37
	v_pk_add_f32 v[22:23], v[48:49], v[50:51]
	v_pk_fma_f32 v[38:39], v[56:57], s[0:1], v[38:39] op_sel:[1,0,0] op_sel_hi:[0,0,1]
	v_pk_fma_f32 v[58:59], v[56:57], s[0:1], v[58:59] op_sel:[1,0,0] op_sel_hi:[0,0,1] neg_lo:[1,0,0] neg_hi:[1,0,0]
	v_pk_add_f32 v[26:27], v[66:67], v[54:55] neg_lo:[0,1] neg_hi:[0,1]
	v_pk_fma_f32 v[22:23], v[22:23], 0.5, v[62:63] op_sel_hi:[1,0,1] neg_lo:[1,0,0] neg_hi:[1,0,0]
	v_mov_b32_e32 v60, v58
	v_mov_b32_e32 v61, v39
	v_pk_add_f32 v[30:31], v[48:49], v[50:51] neg_lo:[0,1] neg_hi:[0,1]
	v_pk_fma_f32 v[74:75], v[46:47], s[16:17], v[60:61] op_sel_hi:[1,0,1]
	v_pk_fma_f32 v[60:61], v[26:27], s[14:15], v[22:23] op_sel:[1,0,0] op_sel_hi:[0,0,1]
	v_pk_fma_f32 v[22:23], v[26:27], s[14:15], v[22:23] op_sel:[1,0,0] op_sel_hi:[0,0,1] neg_lo:[1,0,0] neg_hi:[1,0,0]
	v_pk_add_f32 v[34:35], v[66:67], v[48:49] neg_lo:[0,1] neg_hi:[0,1]
	v_pk_add_f32 v[36:37], v[54:55], v[50:51] neg_lo:[0,1] neg_hi:[0,1]
	v_pk_fma_f32 v[60:61], v[30:31], s[0:1], v[60:61] op_sel:[1,0,0] op_sel_hi:[0,0,1]
	v_pk_fma_f32 v[22:23], v[30:31], s[0:1], v[22:23] op_sel:[1,0,0] op_sel_hi:[0,0,1] neg_lo:[1,0,0] neg_hi:[1,0,0]
	v_pk_add_f32 v[34:35], v[34:35], v[36:37]
	v_mov_b32_e32 v77, v23
	v_mov_b32_e32 v23, v61
	;; [unrolled: 1-line block ×3, first 2 shown]
	v_pk_fma_f32 v[22:23], v[34:35], s[16:17], v[22:23] op_sel_hi:[1,0,1]
	v_pk_fma_f32 v[76:77], v[34:35], s[16:17], v[76:77] op_sel_hi:[1,0,1]
	v_mov_b32_e32 v39, v59
	v_pk_mul_f32 v[34:35], v[22:23], s[0:1] op_sel_hi:[1,0]
	v_pk_fma_f32 v[38:39], v[46:47], s[16:17], v[38:39] op_sel_hi:[1,0,1]
	v_pk_fma_f32 v[46:47], v[22:23], s[18:19], v[34:35] op_sel:[0,0,1] op_sel_hi:[1,0,0]
	v_pk_fma_f32 v[22:23], v[22:23], s[18:19], v[34:35] op_sel:[0,0,1] op_sel_hi:[1,0,0] neg_lo:[0,0,1] neg_hi:[0,0,1]
	v_pk_add_f32 v[44:45], v[44:45], v[28:29]
	v_mov_b32_e32 v35, v22
	v_pk_add_f32 v[22:23], v[20:21], v[32:33]
	v_pk_add_f32 v[36:37], v[62:63], v[66:67]
	v_pk_fma_f32 v[18:19], v[22:23], 0.5, v[18:19] op_sel_hi:[1,0,1] neg_lo:[1,0,0] neg_hi:[1,0,0]
	v_pk_add_f32 v[22:23], v[28:29], v[32:33] neg_lo:[0,1] neg_hi:[0,1]
	v_pk_add_f32 v[28:29], v[66:67], v[54:55]
	v_pk_add_f32 v[36:37], v[36:37], v[48:49]
	;; [unrolled: 1-line block ×3, first 2 shown]
	v_pk_add_f32 v[20:21], v[24:25], v[20:21] neg_lo:[0,1] neg_hi:[0,1]
	v_pk_fma_f32 v[28:29], v[28:29], 0.5, v[62:63] op_sel_hi:[1,0,1] neg_lo:[1,0,0] neg_hi:[1,0,0]
	v_pk_add_f32 v[32:33], v[48:49], v[66:67] neg_lo:[0,1] neg_hi:[0,1]
	v_pk_add_f32 v[48:49], v[50:51], v[54:55] neg_lo:[0,1] neg_hi:[0,1]
	v_pk_add_f32 v[20:21], v[20:21], v[22:23]
	v_pk_fma_f32 v[22:23], v[56:57], s[14:15], v[18:19] op_sel:[1,0,0] op_sel_hi:[0,0,1]
	v_pk_fma_f32 v[18:19], v[56:57], s[14:15], v[18:19] op_sel:[1,0,0] op_sel_hi:[0,0,1] neg_lo:[1,0,0] neg_hi:[1,0,0]
	v_pk_add_f32 v[32:33], v[32:33], v[48:49]
	v_pk_fma_f32 v[48:49], v[30:31], s[14:15], v[28:29] op_sel:[1,0,0] op_sel_hi:[0,0,1] neg_lo:[1,0,0] neg_hi:[1,0,0]
	v_pk_fma_f32 v[28:29], v[30:31], s[14:15], v[28:29] op_sel:[1,0,0] op_sel_hi:[0,0,1]
	v_pk_fma_f32 v[18:19], v[52:53], s[0:1], v[18:19] op_sel:[1,0,0] op_sel_hi:[0,0,1]
	v_pk_fma_f32 v[22:23], v[52:53], s[0:1], v[22:23] op_sel:[1,0,0] op_sel_hi:[0,0,1] neg_lo:[1,0,0] neg_hi:[1,0,0]
	v_pk_fma_f32 v[30:31], v[26:27], s[0:1], v[48:49] op_sel:[1,0,0] op_sel_hi:[0,0,1]
	v_pk_fma_f32 v[26:27], v[26:27], s[0:1], v[28:29] op_sel:[1,0,0] op_sel_hi:[0,0,1] neg_lo:[1,0,0] neg_hi:[1,0,0]
	v_mov_b32_e32 v24, v22
	v_mov_b32_e32 v25, v19
	;; [unrolled: 1-line block ×5, first 2 shown]
	v_pk_fma_f32 v[24:25], v[20:21], s[16:17], v[24:25] op_sel_hi:[1,0,1]
	v_pk_fma_f32 v[18:19], v[20:21], s[16:17], v[18:19] op_sel_hi:[1,0,1]
	;; [unrolled: 1-line block ×3, first 2 shown]
	v_mov_b32_e32 v28, v30
	v_pk_mul_f32 v[22:23], v[20:21], s[14:15] op_sel_hi:[1,0]
	v_pk_fma_f32 v[28:29], v[32:33], s[16:17], v[28:29] op_sel_hi:[1,0,1]
	v_pk_fma_f32 v[26:27], v[20:21], s[16:17], v[22:23] op_sel:[0,0,1] op_sel_hi:[1,0,0]
	v_pk_fma_f32 v[20:21], v[20:21], s[16:17], v[22:23] op_sel:[0,0,1] op_sel_hi:[1,0,0] neg_lo:[0,0,1] neg_hi:[0,0,1]
	v_pk_add_f32 v[36:37], v[36:37], v[50:51]
	v_mov_b32_e32 v22, v27
	v_mov_b32_e32 v23, v20
	v_pk_mul_f32 v[20:21], v[28:29], s[16:17] op_sel_hi:[1,0]
	v_pk_mul_f32 v[26:27], v[76:77], s[18:19] op_sel_hi:[1,0]
	v_pk_add_f32 v[36:37], v[36:37], v[54:55]
	v_mov_b32_e32 v34, v47
	v_pk_add_f32 v[48:49], v[18:19], v[22:23]
	v_pk_fma_f32 v[20:21], v[28:29], s[14:15], v[20:21] op_sel:[0,0,1] op_sel_hi:[1,1,0] neg_lo:[0,0,1] neg_hi:[0,0,1]
	v_pk_fma_f32 v[26:27], v[76:77], s[0:1], v[26:27] op_sel:[0,0,1] op_sel_hi:[1,1,0] neg_lo:[0,0,1] neg_hi:[0,0,1]
	v_pk_add_f32 v[58:59], v[18:19], v[22:23] neg_lo:[0,1] neg_hi:[0,1]
	v_mul_u32_u24_e32 v18, 0x82, v69
	v_pk_add_f32 v[44:45], v[78:79], v[36:37] op_sel:[0,1] op_sel_hi:[1,0]
	v_pk_add_f32 v[46:47], v[38:39], v[34:35]
	v_pk_add_f32 v[50:51], v[24:25], v[20:21]
	;; [unrolled: 1-line block ×3, first 2 shown]
	v_pk_add_f32 v[54:55], v[78:79], v[36:37] op_sel:[0,1] op_sel_hi:[1,0] neg_lo:[0,1] neg_hi:[0,1]
	v_pk_add_f32 v[56:57], v[38:39], v[34:35] neg_lo:[0,1] neg_hi:[0,1]
	v_pk_add_f32 v[60:61], v[24:25], v[20:21] neg_lo:[0,1] neg_hi:[0,1]
	;; [unrolled: 1-line block ×3, first 2 shown]
	v_add_lshl_u32 v184, v18, v80, 3
	ds_write2_b64 v184, v[44:45], v[46:47] offset1:13
	ds_write2_b64 v184, v[48:49], v[50:51] offset0:26 offset1:39
	ds_write2_b64 v184, v[52:53], v[54:55] offset0:52 offset1:65
	;; [unrolled: 1-line block ×4, first 2 shown]
	s_waitcnt lgkmcnt(0)
	s_barrier
	s_and_saveexec_b64 s[0:1], s[2:3]
	s_cbranch_execz .LBB0_9
; %bb.8:
	ds_read2_b64 v[44:47], v68 offset1:130
	ds_read2_b64 v[48:51], v17 offset0:4 offset1:134
	v_add_u32_e32 v17, 0x1000, v68
	ds_read2_b64 v[52:55], v17 offset0:8 offset1:138
	v_add_u32_e32 v17, 0x1800, v68
	;; [unrolled: 2-line block ×3, first 2 shown]
	ds_read2_b64 v[60:63], v17 offset0:16 offset1:146
	ds_read2_b64 v[40:43], v16 offset0:20 offset1:150
	ds_read_b64 v[64:65], v68 offset:12480
.LBB0_9:
	s_or_b64 exec, exec, s[0:1]
	v_add_u32_e32 v16, 0xffffff7e, v71
	v_cndmask_b32_e64 v16, v16, v71, s[2:3]
	v_mul_hi_i32_i24_e32 v17, 0x60, v16
	v_mul_i32_i24_e32 v16, 0x60, v16
	v_lshl_add_u64 v[66:67], s[10:11], 0, v[16:17]
	global_load_dwordx4 v[36:39], v[66:67], off offset:1016
	global_load_dwordx4 v[16:19], v[66:67], off offset:952
	;; [unrolled: 1-line block ×6, first 2 shown]
	s_waitcnt lgkmcnt(0)
	v_mov_b32_e32 v74, v65
	v_mov_b32_e32 v76, v41
	;; [unrolled: 1-line block ×3, first 2 shown]
	s_mov_b32 s14, 0xbeedf032
	s_mov_b32 s20, 0xbf52af12
	s_mov_b32 s10, 0x3f62ad3f
	s_mov_b32 s0, 0x3f116cb1
	s_mov_b32 s22, 0xbf7e222b
	s_mov_b32 s16, 0xbf6f5d39
	s_mov_b32 s18, 0x3df6dbef
	s_mov_b32 s28, 0xbe750f2a
	s_mov_b32 s24, 0xbf788fa5
	s_mov_b32 s30, 0x3eedf032
	s_mov_b32 s26, 0x3f6f5d39
	s_mov_b32 s36, 0xbf29c268
	s_mov_b32 s42, 0x3f29c268
	s_mov_b32 s40, 0x3e750f2a
	s_mov_b32 s38, 0x3f52af12
	s_waitcnt vmcnt(5)
	v_pk_mul_f32 v[74:75], v[74:75], v[38:39] op_sel_hi:[0,1]
	s_waitcnt vmcnt(4)
	v_pk_mul_f32 v[80:81], v[50:51], v[16:17] op_sel:[1,0]
	v_pk_mul_f32 v[82:83], v[52:53], v[18:19] op_sel:[1,0]
	s_waitcnt vmcnt(3)
	v_pk_mul_f32 v[84:85], v[54:55], v[28:29] op_sel:[1,0]
	s_waitcnt vmcnt(1)
	v_pk_mul_f32 v[76:77], v[76:77], v[34:35] op_sel_hi:[0,1]
	s_waitcnt vmcnt(0)
	v_pk_mul_f32 v[94:95], v[46:47], v[20:21] op_sel:[0,1]
	v_mov_b32_e32 v96, v23
	v_pk_fma_f32 v[78:79], v[64:65], v[38:39], v[74:75] op_sel:[0,0,1] op_sel_hi:[1,1,0] neg_lo:[0,0,1] neg_hi:[0,0,1]
	v_pk_fma_f32 v[64:65], v[64:65], v[38:39], v[74:75] op_sel:[0,0,1] op_sel_hi:[0,1,0]
	v_pk_fma_f32 v[100:101], v[50:51], v[16:17], v[80:81] op_sel:[0,0,1] op_sel_hi:[1,1,0] neg_lo:[0,0,1] neg_hi:[0,0,1]
	v_pk_fma_f32 v[50:51], v[50:51], v[16:17], v[80:81] op_sel:[0,0,1] op_sel_hi:[0,1,0]
	;; [unrolled: 2-line block ×6, first 2 shown]
	v_pk_mul_f32 v[84:85], v[48:49], v[96:97] op_sel_hi:[1,0]
	v_pk_mul_f32 v[66:67], v[66:67], v[36:37] op_sel_hi:[0,1]
	v_mov_b32_e32 v81, v41
	v_mov_b32_e32 v77, v47
	v_pk_fma_f32 v[40:41], v[48:49], v[22:23], v[84:85] op_sel:[0,0,1] op_sel_hi:[1,1,0] neg_lo:[0,0,1] neg_hi:[0,0,1]
	v_pk_fma_f32 v[46:47], v[48:49], v[22:23], v[84:85] op_sel:[0,0,1] op_sel_hi:[1,0,0]
	v_pk_mul_f32 v[86:87], v[56:57], v[30:31] op_sel:[1,0]
	v_pk_mul_f32 v[88:89], v[58:59], v[24:25] op_sel:[1,0]
	;; [unrolled: 1-line block ×4, first 2 shown]
	v_pk_fma_f32 v[98:99], v[42:43], v[36:37], v[66:67] op_sel:[0,0,1] op_sel_hi:[1,1,0] neg_lo:[0,0,1] neg_hi:[0,0,1]
	v_pk_fma_f32 v[66:67], v[42:43], v[36:37], v[66:67] op_sel:[0,0,1] op_sel_hi:[0,1,0]
	v_mov_b32_e32 v79, v65
	v_mov_b32_e32 v41, v47
	v_pk_add_f32 v[48:49], v[44:45], v[76:77]
	v_pk_fma_f32 v[42:43], v[56:57], v[30:31], v[86:87] op_sel:[0,0,1] op_sel_hi:[1,1,0] neg_lo:[0,0,1] neg_hi:[0,0,1]
	v_pk_fma_f32 v[56:57], v[56:57], v[30:31], v[86:87] op_sel:[0,0,1] op_sel_hi:[0,1,0]
	v_pk_fma_f32 v[52:53], v[58:59], v[24:25], v[88:89] op_sel:[0,0,1] op_sel_hi:[1,1,0] neg_lo:[0,0,1] neg_hi:[0,0,1]
	v_pk_fma_f32 v[58:59], v[58:59], v[24:25], v[88:89] op_sel:[0,0,1] op_sel_hi:[0,1,0]
	;; [unrolled: 2-line block ×4, first 2 shown]
	v_mov_b32_e32 v99, v67
	v_mov_b32_e32 v101, v51
	v_pk_add_f32 v[50:51], v[76:77], v[78:79] neg_lo:[0,1] neg_hi:[0,1]
	v_pk_add_f32 v[48:49], v[48:49], v[40:41]
	v_mov_b32_e32 v103, v75
	v_mov_b32_e32 v83, v55
	;; [unrolled: 1-line block ×4, first 2 shown]
	v_pk_add_f32 v[46:47], v[76:77], v[78:79]
	v_pk_mul_f32 v[54:55], v[50:51], s[14:15] op_sel_hi:[1,0]
	v_pk_mul_f32 v[60:61], v[50:51], s[20:21] op_sel_hi:[1,0]
	v_pk_add_f32 v[90:91], v[40:41], v[98:99]
	v_pk_add_f32 v[40:41], v[40:41], v[98:99] neg_lo:[0,1] neg_hi:[0,1]
	v_pk_add_f32 v[62:63], v[48:49], v[100:101]
	v_mov_b32_e32 v43, v57
	v_mov_b32_e32 v53, v59
	v_pk_fma_f32 v[56:57], v[46:47], s[10:11], v[54:55] op_sel:[0,0,1] op_sel_hi:[1,0,0]
	v_pk_fma_f32 v[58:59], v[46:47], s[10:11], v[54:55] op_sel:[0,0,1] op_sel_hi:[1,0,0] neg_lo:[0,0,1] neg_hi:[0,0,1]
	v_pk_fma_f32 v[48:49], v[46:47], s[0:1], v[60:61] op_sel:[0,0,1] op_sel_hi:[1,0,0]
	v_pk_fma_f32 v[54:55], v[46:47], s[0:1], v[60:61] op_sel:[0,0,1] op_sel_hi:[1,0,0] neg_lo:[0,0,1] neg_hi:[0,0,1]
	v_pk_mul_f32 v[60:61], v[40:41], s[20:21] op_sel:[1,0] op_sel_hi:[0,0]
	v_pk_add_f32 v[62:63], v[62:63], v[102:103]
	v_pk_fma_f32 v[74:75], v[90:91], s[0:1], v[60:61] op_sel_hi:[1,0,1]
	v_pk_fma_f32 v[76:77], v[90:91], s[0:1], v[60:61] op_sel_hi:[1,0,1] neg_lo:[0,0,1] neg_hi:[0,0,1]
	v_pk_add_f32 v[60:61], v[62:63], v[82:83]
	v_mov_b32_e32 v64, v56
	v_pk_add_f32 v[60:61], v[60:61], v[42:43]
	v_mov_b32_e32 v65, v59
	;; [unrolled: 2-line block ×4, first 2 shown]
	v_pk_add_f32 v[60:61], v[60:61], v[88:89]
	v_pk_add_f32 v[96:97], v[100:101], v[80:81] neg_lo:[0,1] neg_hi:[0,1]
	v_pk_add_f32 v[62:63], v[44:45], v[64:65]
	v_pk_add_f32 v[64:65], v[44:45], v[66:67]
	v_mov_b32_e32 v66, v74
	v_pk_add_f32 v[60:61], v[60:61], v[80:81]
	v_mov_b32_e32 v67, v77
	v_pk_add_f32 v[94:95], v[100:101], v[80:81]
	v_pk_mul_f32 v[80:81], v[96:97], s[22:23] op_sel:[1,0] op_sel_hi:[0,0]
	v_pk_add_f32 v[92:93], v[60:61], v[98:99]
	v_pk_add_f32 v[66:67], v[66:67], v[62:63]
	s_mov_b32 s14, 0xbeb58ec6
	v_pk_mul_f32 v[62:63], v[40:41], s[16:17] op_sel:[1,0] op_sel_hi:[0,0]
	v_pk_fma_f32 v[98:99], v[94:95], s[18:19], v[80:81] op_sel_hi:[1,0,1]
	v_pk_fma_f32 v[100:101], v[94:95], s[18:19], v[80:81] op_sel_hi:[1,0,1] neg_lo:[0,0,1] neg_hi:[0,0,1]
	v_pk_fma_f32 v[60:61], v[90:91], s[14:15], v[62:63] op_sel_hi:[1,0,1]
	v_pk_fma_f32 v[62:63], v[90:91], s[14:15], v[62:63] op_sel_hi:[1,0,1] neg_lo:[0,0,1] neg_hi:[0,0,1]
	v_mov_b32_e32 v80, v98
	v_mov_b32_e32 v81, v101
	v_mov_b32_e32 v84, v60
	v_mov_b32_e32 v85, v63
	v_pk_add_f32 v[104:105], v[80:81], v[66:67]
	v_pk_mul_f32 v[66:67], v[96:97], s[28:29] op_sel:[1,0] op_sel_hi:[0,0]
	v_pk_mul_f32 v[112:113], v[50:51], s[28:29] op_sel_hi:[1,0]
	v_pk_add_f32 v[64:65], v[84:85], v[64:65]
	v_pk_fma_f32 v[80:81], v[94:95], s[24:25], v[66:67] op_sel_hi:[1,0,1]
	v_pk_fma_f32 v[84:85], v[94:95], s[24:25], v[66:67] op_sel_hi:[1,0,1] neg_lo:[0,0,1] neg_hi:[0,0,1]
	v_pk_fma_f32 v[114:115], v[46:47], s[24:25], v[112:113] op_sel:[0,0,1] op_sel_hi:[1,0,0] neg_lo:[0,0,1] neg_hi:[0,0,1]
	v_pk_fma_f32 v[112:113], v[46:47], s[24:25], v[112:113] op_sel:[0,0,1] op_sel_hi:[1,0,0]
	v_pk_mul_f32 v[118:119], v[40:41], s[30:31] op_sel:[1,0] op_sel_hi:[0,0]
	v_mov_b32_e32 v66, v80
	v_mov_b32_e32 v67, v85
	;; [unrolled: 1-line block ×3, first 2 shown]
	v_pk_fma_f32 v[120:121], v[90:91], s[10:11], v[118:119] op_sel_hi:[1,0,1] neg_lo:[0,0,1] neg_hi:[0,0,1]
	v_pk_fma_f32 v[118:119], v[90:91], s[10:11], v[118:119] op_sel_hi:[1,0,1]
	v_mov_b32_e32 v113, v115
	v_pk_add_f32 v[106:107], v[66:67], v[64:65]
	v_pk_mul_f32 v[66:67], v[96:97], s[26:27] op_sel:[1,0] op_sel_hi:[0,0]
	v_mov_b32_e32 v116, v114
	v_mov_b32_e32 v123, v119
	v_pk_add_f32 v[112:113], v[44:45], v[112:113]
	v_mov_b32_e32 v119, v121
	s_mov_b32 s26, 0xbf3f9e67
	v_pk_mul_f32 v[114:115], v[96:97], s[36:37] op_sel:[1,0] op_sel_hi:[0,0]
	v_pk_add_f32 v[112:113], v[118:119], v[112:113]
	v_pk_fma_f32 v[118:119], v[94:95], s[26:27], v[114:115] op_sel_hi:[1,0,1] neg_lo:[0,0,1] neg_hi:[0,0,1]
	v_pk_fma_f32 v[114:115], v[94:95], s[26:27], v[114:115] op_sel_hi:[1,0,1]
	v_pk_add_f32 v[116:117], v[44:45], v[116:117]
	v_mov_b32_e32 v121, v115
	v_mov_b32_e32 v115, v119
	v_pk_add_f32 v[112:113], v[114:115], v[112:113]
	v_pk_add_f32 v[114:115], v[102:103], v[88:89]
	v_pk_add_f32 v[88:89], v[102:103], v[88:89] neg_lo:[0,1] neg_hi:[0,1]
	v_mov_b32_e32 v122, v120
	v_pk_mul_f32 v[102:103], v[88:89], s[16:17] op_sel:[1,0] op_sel_hi:[0,0]
	v_pk_mul_f32 v[132:133], v[50:51], s[36:37] op_sel_hi:[1,0]
	v_pk_add_f32 v[116:117], v[122:123], v[116:117]
	v_mov_b32_e32 v120, v118
	v_pk_fma_f32 v[118:119], v[114:115], s[14:15], v[102:103] op_sel_hi:[1,0,1]
	v_pk_fma_f32 v[102:103], v[114:115], s[14:15], v[102:103] op_sel_hi:[1,0,1] neg_lo:[0,0,1] neg_hi:[0,0,1]
	v_pk_fma_f32 v[134:135], v[46:47], s[26:27], v[132:133] op_sel:[0,0,1] op_sel_hi:[1,0,0] neg_lo:[0,0,1] neg_hi:[0,0,1]
	v_pk_fma_f32 v[132:133], v[46:47], s[26:27], v[132:133] op_sel:[0,0,1] op_sel_hi:[1,0,0]
	v_pk_add_f32 v[116:117], v[120:121], v[116:117]
	v_mov_b32_e32 v120, v118
	v_mov_b32_e32 v121, v103
	;; [unrolled: 1-line block ×5, first 2 shown]
	v_pk_mul_f32 v[134:135], v[40:41], s[34:35] op_sel:[1,0] op_sel_hi:[0,0]
	v_pk_add_f32 v[104:105], v[120:121], v[104:105]
	v_pk_mul_f32 v[120:121], v[88:89], s[42:43] op_sel:[1,0] op_sel_hi:[0,0]
	v_pk_fma_f32 v[138:139], v[90:91], s[18:19], v[134:135] op_sel_hi:[1,0,1] neg_lo:[0,0,1] neg_hi:[0,0,1]
	v_pk_fma_f32 v[134:135], v[90:91], s[18:19], v[134:135] op_sel_hi:[1,0,1]
	v_pk_mul_f32 v[108:109], v[96:97], s[30:31] op_sel:[1,0] op_sel_hi:[0,0]
	v_pk_fma_f32 v[122:123], v[114:115], s[26:27], v[120:121] op_sel_hi:[1,0,1]
	v_pk_fma_f32 v[120:121], v[114:115], s[26:27], v[120:121] op_sel_hi:[1,0,1] neg_lo:[0,0,1] neg_hi:[0,0,1]
	v_mov_b32_e32 v141, v135
	v_pk_add_f32 v[132:133], v[44:45], v[132:133]
	v_mov_b32_e32 v135, v139
	v_pk_mul_f32 v[96:97], v[96:97], s[20:21] op_sel:[1,0] op_sel_hi:[0,0]
	v_pk_fma_f32 v[64:65], v[94:95], s[14:15], v[66:67] op_sel_hi:[1,0,1]
	v_pk_fma_f32 v[66:67], v[94:95], s[14:15], v[66:67] op_sel_hi:[1,0,1] neg_lo:[0,0,1] neg_hi:[0,0,1]
	v_pk_fma_f32 v[110:111], v[94:95], s[10:11], v[108:109] op_sel_hi:[1,0,1]
	v_pk_fma_f32 v[108:109], v[94:95], s[10:11], v[108:109] op_sel_hi:[1,0,1] neg_lo:[0,0,1] neg_hi:[0,0,1]
	v_mov_b32_e32 v124, v122
	v_mov_b32_e32 v125, v121
	v_pk_add_f32 v[136:137], v[44:45], v[136:137]
	v_mov_b32_e32 v140, v138
	v_pk_add_f32 v[132:133], v[134:135], v[132:133]
	v_pk_fma_f32 v[134:135], v[94:95], s[0:1], v[96:97] op_sel_hi:[1,0,1] neg_lo:[0,0,1] neg_hi:[0,0,1]
	v_pk_fma_f32 v[94:95], v[94:95], s[0:1], v[96:97] op_sel_hi:[1,0,1]
	v_pk_add_f32 v[106:107], v[124:125], v[106:107]
	v_pk_mul_f32 v[124:125], v[88:89], s[30:31] op_sel:[1,0] op_sel_hi:[0,0]
	v_pk_mul_f32 v[128:129], v[88:89], s[22:23] op_sel:[1,0] op_sel_hi:[0,0]
	v_pk_add_f32 v[136:137], v[140:141], v[136:137]
	v_pk_mul_f32 v[140:141], v[88:89], s[40:41] op_sel:[1,0] op_sel_hi:[0,0]
	v_mov_b32_e32 v97, v95
	v_mov_b32_e32 v95, v135
	v_pk_fma_f32 v[126:127], v[114:115], s[10:11], v[124:125] op_sel_hi:[1,0,1]
	v_pk_fma_f32 v[124:125], v[114:115], s[10:11], v[124:125] op_sel_hi:[1,0,1] neg_lo:[0,0,1] neg_hi:[0,0,1]
	v_pk_fma_f32 v[130:131], v[114:115], s[18:19], v[128:129] op_sel_hi:[1,0,1]
	v_pk_fma_f32 v[128:129], v[114:115], s[18:19], v[128:129] op_sel_hi:[1,0,1] neg_lo:[0,0,1] neg_hi:[0,0,1]
	v_mov_b32_e32 v96, v134
	v_pk_add_f32 v[94:95], v[94:95], v[132:133]
	v_pk_fma_f32 v[132:133], v[114:115], s[24:25], v[140:141] op_sel_hi:[1,0,1] neg_lo:[0,0,1] neg_hi:[0,0,1]
	v_pk_fma_f32 v[134:135], v[114:115], s[24:25], v[140:141] op_sel_hi:[1,0,1]
	v_pk_mul_f32 v[114:115], v[114:115], s[0:1] op_sel_hi:[1,0]
	v_pk_add_f32 v[96:97], v[96:97], v[136:137]
	v_mov_b32_e32 v136, v132
	v_mov_b32_e32 v137, v135
	;; [unrolled: 1-line block ×3, first 2 shown]
	v_pk_fma_f32 v[132:133], v[88:89], s[38:39], v[114:115] op_sel:[1,0,0] op_sel_hi:[0,0,1] neg_lo:[1,0,0] neg_hi:[1,0,0]
	v_pk_fma_f32 v[88:89], v[88:89], s[38:39], v[114:115] op_sel:[1,0,0] op_sel_hi:[0,0,1]
	v_mov_b32_e32 v115, v89
	v_mov_b32_e32 v89, v133
	v_pk_add_f32 v[88:89], v[88:89], v[112:113]
	v_pk_add_f32 v[112:113], v[82:83], v[86:87]
	v_pk_add_f32 v[82:83], v[82:83], v[86:87] neg_lo:[0,1] neg_hi:[0,1]
	v_mov_b32_e32 v114, v132
	v_pk_mul_f32 v[86:87], v[82:83], s[36:37] op_sel:[1,0] op_sel_hi:[0,0]
	v_pk_add_f32 v[114:115], v[114:115], v[116:117]
	v_pk_fma_f32 v[116:117], v[112:113], s[26:27], v[86:87] op_sel_hi:[1,0,1]
	v_pk_fma_f32 v[86:87], v[112:113], s[26:27], v[86:87] op_sel_hi:[1,0,1] neg_lo:[0,0,1] neg_hi:[0,0,1]
	v_mov_b32_e32 v132, v116
	v_mov_b32_e32 v133, v87
	v_pk_add_f32 v[104:105], v[132:133], v[104:105]
	v_pk_mul_f32 v[132:133], v[82:83], s[34:35] op_sel:[1,0] op_sel_hi:[0,0]
	v_pk_add_f32 v[94:95], v[134:135], v[94:95]
	v_pk_fma_f32 v[134:135], v[112:113], s[18:19], v[132:133] op_sel_hi:[1,0,1]
	v_pk_fma_f32 v[132:133], v[112:113], s[18:19], v[132:133] op_sel_hi:[1,0,1] neg_lo:[0,0,1] neg_hi:[0,0,1]
	v_pk_add_f32 v[96:97], v[136:137], v[96:97]
	v_mov_b32_e32 v136, v134
	v_mov_b32_e32 v137, v133
	v_pk_add_f32 v[106:107], v[136:137], v[106:107]
	v_pk_mul_f32 v[136:137], v[50:51], s[16:17] op_sel_hi:[1,0]
	v_mov_b32_e32 v59, v57
	v_pk_fma_f32 v[138:139], v[46:47], s[14:15], v[136:137] op_sel:[0,0,1] op_sel_hi:[1,0,0] neg_lo:[0,0,1] neg_hi:[0,0,1]
	v_pk_fma_f32 v[136:137], v[46:47], s[14:15], v[136:137] op_sel:[0,0,1] op_sel_hi:[1,0,0]
	v_mov_b32_e32 v140, v138
	v_mov_b32_e32 v141, v137
	;; [unrolled: 1-line block ×3, first 2 shown]
	v_pk_mul_f32 v[138:139], v[40:41], s[28:29] op_sel:[1,0] op_sel_hi:[0,0]
	v_pk_mul_f32 v[40:41], v[40:41], s[42:43] op_sel:[1,0] op_sel_hi:[0,0]
	v_pk_fma_f32 v[142:143], v[90:91], s[24:25], v[138:139] op_sel_hi:[1,0,1]
	v_pk_fma_f32 v[138:139], v[90:91], s[24:25], v[138:139] op_sel_hi:[1,0,1] neg_lo:[0,0,1] neg_hi:[0,0,1]
	v_pk_fma_f32 v[144:145], v[90:91], s[26:27], v[40:41] op_sel_hi:[1,0,1] neg_lo:[0,0,1] neg_hi:[0,0,1]
	v_pk_fma_f32 v[90:91], v[90:91], s[26:27], v[40:41] op_sel_hi:[1,0,1]
	v_pk_add_f32 v[40:41], v[44:45], v[140:141]
	v_mov_b32_e32 v140, v144
	v_mov_b32_e32 v141, v91
	v_pk_add_f32 v[140:141], v[140:141], v[40:41]
	v_mov_b32_e32 v91, v145
	v_pk_add_f32 v[40:41], v[92:93], v[78:79]
	v_pk_add_f32 v[78:79], v[44:45], v[136:137]
	;; [unrolled: 1-line block ×4, first 2 shown]
	v_mov_b32_e32 v91, v109
	v_mov_b32_e32 v109, v111
	v_pk_add_f32 v[108:109], v[108:109], v[140:141]
	v_pk_add_f32 v[140:141], v[42:43], v[52:53] neg_lo:[0,1] neg_hi:[0,1]
	v_pk_add_f32 v[52:53], v[44:45], v[58:59]
	v_mov_b32_e32 v77, v75
	v_pk_add_f32 v[52:53], v[76:77], v[52:53]
	v_mov_b32_e32 v101, v99
	v_pk_mul_f32 v[42:43], v[140:141], s[28:29] op_sel:[1,0] op_sel_hi:[0,0]
	v_pk_add_f32 v[52:53], v[100:101], v[52:53]
	v_mov_b32_e32 v103, v119
	v_mov_b32_e32 v55, v49
	;; [unrolled: 1-line block ×3, first 2 shown]
	v_pk_add_f32 v[52:53], v[102:103], v[52:53]
	v_mov_b32_e32 v87, v117
	v_pk_fma_f32 v[56:57], v[136:137], s[24:25], v[42:43] op_sel_hi:[1,0,1] neg_lo:[0,0,1] neg_hi:[0,0,1]
	v_pk_fma_f32 v[58:59], v[136:137], s[24:25], v[42:43] op_sel_hi:[1,0,1]
	v_pk_add_f32 v[48:49], v[44:45], v[54:55]
	v_mov_b32_e32 v63, v61
	v_pk_add_f32 v[78:79], v[90:91], v[78:79]
	v_mov_b32_e32 v90, v130
	v_mov_b32_e32 v91, v129
	;; [unrolled: 1-line block ×3, first 2 shown]
	v_pk_mul_f32 v[130:131], v[82:83], s[40:41] op_sel:[1,0] op_sel_hi:[0,0]
	v_pk_add_f32 v[52:53], v[86:87], v[52:53]
	v_mov_b32_e32 v42, v56
	v_mov_b32_e32 v43, v59
	v_pk_add_f32 v[48:49], v[62:63], v[48:49]
	v_mov_b32_e32 v85, v81
	v_pk_add_f32 v[108:109], v[128:129], v[108:109]
	v_pk_add_f32 v[78:79], v[90:91], v[78:79]
	v_pk_fma_f32 v[90:91], v[112:113], s[24:25], v[130:131] op_sel_hi:[1,0,1] neg_lo:[0,0,1] neg_hi:[0,0,1]
	v_pk_fma_f32 v[128:129], v[112:113], s[24:25], v[130:131] op_sel_hi:[1,0,1]
	v_pk_add_f32 v[42:43], v[42:43], v[52:53]
	v_pk_mul_f32 v[52:53], v[140:141], s[30:31] op_sel:[1,0] op_sel_hi:[0,0]
	v_pk_add_f32 v[48:49], v[84:85], v[48:49]
	v_mov_b32_e32 v121, v123
	v_mov_b32_e32 v130, v90
	;; [unrolled: 1-line block ×4, first 2 shown]
	v_pk_mul_f32 v[90:91], v[112:113], s[10:11] op_sel_hi:[1,0]
	v_pk_add_f32 v[48:49], v[120:121], v[48:49]
	v_mov_b32_e32 v133, v135
	v_pk_fma_f32 v[54:55], v[136:137], s[10:11], v[52:53] op_sel_hi:[1,0,1] neg_lo:[0,0,1] neg_hi:[0,0,1]
	v_pk_fma_f32 v[52:53], v[136:137], s[10:11], v[52:53] op_sel_hi:[1,0,1]
	v_pk_add_f32 v[78:79], v[128:129], v[78:79]
	v_pk_fma_f32 v[128:129], v[82:83], s[30:31], v[90:91] op_sel:[1,0,0] op_sel_hi:[0,0,1] neg_lo:[1,0,0] neg_hi:[1,0,0]
	v_pk_fma_f32 v[90:91], v[82:83], s[30:31], v[90:91] op_sel:[1,0,0] op_sel_hi:[0,0,1]
	v_mov_b32_e32 v59, v57
	v_pk_add_f32 v[48:49], v[132:133], v[48:49]
	v_mov_b32_e32 v56, v54
	v_mov_b32_e32 v57, v53
	v_pk_mul_f32 v[50:51], v[50:51], s[22:23] op_sel_hi:[1,0]
	v_pk_add_f32 v[108:109], v[130:131], v[108:109]
	v_mov_b32_e32 v130, v128
	v_mov_b32_e32 v131, v91
	;; [unrolled: 1-line block ×3, first 2 shown]
	v_pk_add_f32 v[48:49], v[56:57], v[48:49]
	v_pk_fma_f32 v[56:57], v[46:47], s[18:19], v[50:51] op_sel:[0,0,1] op_sel_hi:[1,0,0] neg_lo:[0,0,1] neg_hi:[0,0,1]
	v_pk_fma_f32 v[46:47], v[46:47], s[18:19], v[50:51] op_sel:[0,0,1] op_sel_hi:[1,0,0]
	v_pk_add_f32 v[96:97], v[130:131], v[96:97]
	v_pk_mul_f32 v[130:131], v[82:83], s[20:21] op_sel:[1,0] op_sel_hi:[0,0]
	v_pk_add_f32 v[90:91], v[90:91], v[94:95]
	v_pk_mul_f32 v[94:95], v[112:113], s[14:15] op_sel_hi:[1,0]
	v_mov_b32_e32 v50, v56
	v_mov_b32_e32 v51, v47
	;; [unrolled: 1-line block ×5, first 2 shown]
	v_pk_fma_f32 v[128:129], v[112:113], s[0:1], v[130:131] op_sel_hi:[1,0,1]
	v_pk_fma_f32 v[130:131], v[112:113], s[0:1], v[130:131] op_sel_hi:[1,0,1] neg_lo:[0,0,1] neg_hi:[0,0,1]
	v_pk_fma_f32 v[112:113], v[82:83], s[16:17], v[94:95] op_sel:[1,0,0] op_sel_hi:[0,0,1] neg_lo:[1,0,0] neg_hi:[1,0,0]
	v_pk_fma_f32 v[82:83], v[82:83], s[16:17], v[94:95] op_sel:[1,0,0] op_sel_hi:[0,0,1]
	v_pk_add_f32 v[50:51], v[44:45], v[50:51]
	v_pk_add_f32 v[44:45], v[44:45], v[46:47]
	v_mov_b32_e32 v110, v64
	v_mov_b32_e32 v111, v67
	;; [unrolled: 1-line block ×6, first 2 shown]
	v_pk_add_f32 v[44:45], v[92:93], v[44:45]
	v_pk_add_f32 v[94:95], v[94:95], v[114:115]
	v_mov_b32_e32 v114, v126
	v_mov_b32_e32 v115, v125
	v_pk_add_f32 v[54:55], v[52:53], v[106:107]
	v_pk_mul_f32 v[52:53], v[140:141], s[36:37] op_sel:[1,0] op_sel_hi:[0,0]
	v_pk_add_f32 v[46:47], v[138:139], v[50:51]
	v_mov_b32_e32 v67, v65
	v_pk_add_f32 v[44:45], v[110:111], v[44:45]
	v_mov_b32_e32 v83, v113
	v_mov_b32_e32 v112, v128
	;; [unrolled: 1-line block ×3, first 2 shown]
	v_pk_add_f32 v[46:47], v[66:67], v[46:47]
	v_mov_b32_e32 v125, v127
	v_pk_add_f32 v[44:45], v[114:115], v[44:45]
	v_pk_fma_f32 v[56:57], v[136:137], s[26:27], v[52:53] op_sel_hi:[1,0,1] neg_lo:[0,0,1] neg_hi:[0,0,1]
	v_pk_fma_f32 v[52:53], v[136:137], s[26:27], v[52:53] op_sel_hi:[1,0,1]
	v_pk_add_f32 v[46:47], v[124:125], v[46:47]
	v_mov_b32_e32 v131, v129
	v_pk_add_f32 v[44:45], v[112:113], v[44:45]
	v_mov_b32_e32 v51, v53
	v_mov_b32_e32 v53, v57
	v_pk_add_f32 v[46:47], v[130:131], v[46:47]
	v_mov_b32_e32 v50, v56
	v_pk_add_f32 v[52:53], v[52:53], v[44:45]
	v_pk_mul_f32 v[44:45], v[136:137], s[0:1] op_sel_hi:[1,0]
	v_pk_add_f32 v[50:51], v[50:51], v[46:47]
	v_pk_fma_f32 v[46:47], v[140:141], s[38:39], v[44:45] op_sel:[1,0,0] op_sel_hi:[0,0,1] neg_lo:[1,0,0] neg_hi:[1,0,0]
	v_pk_fma_f32 v[44:45], v[140:141], s[38:39], v[44:45] op_sel:[1,0,0] op_sel_hi:[0,0,1]
	v_mov_b32_e32 v57, v45
	v_mov_b32_e32 v45, v47
	v_pk_add_f32 v[62:63], v[44:45], v[78:79]
	v_pk_mul_f32 v[44:45], v[136:137], s[14:15] op_sel_hi:[1,0]
	v_mov_b32_e32 v56, v46
	v_pk_fma_f32 v[46:47], v[140:141], s[16:17], v[44:45] op_sel:[1,0,0] op_sel_hi:[0,0,1] neg_lo:[1,0,0] neg_hi:[1,0,0]
	v_pk_fma_f32 v[44:45], v[140:141], s[16:17], v[44:45] op_sel:[1,0,0] op_sel_hi:[0,0,1]
	v_pk_add_f32 v[88:89], v[82:83], v[88:89]
	v_pk_add_f32 v[82:83], v[58:59], v[104:105]
	v_mov_b32_e32 v59, v45
	v_mov_b32_e32 v45, v47
	v_pk_add_f32 v[60:61], v[44:45], v[90:91]
	v_pk_mul_f32 v[44:45], v[140:141], s[34:35] op_sel:[1,0] op_sel_hi:[0,0]
	v_mov_b32_e32 v58, v46
	v_pk_fma_f32 v[46:47], v[136:137], s[18:19], v[44:45] op_sel_hi:[1,0,1] neg_lo:[0,0,1] neg_hi:[0,0,1]
	v_pk_fma_f32 v[44:45], v[136:137], s[18:19], v[44:45] op_sel_hi:[1,0,1]
	v_mov_b32_e32 v64, v46
	v_mov_b32_e32 v65, v45
	v_mov_b32_e32 v45, v47
	v_pk_add_f32 v[56:57], v[56:57], v[108:109]
	v_pk_add_f32 v[58:59], v[58:59], v[96:97]
	;; [unrolled: 1-line block ×4, first 2 shown]
	s_and_saveexec_b64 s[0:1], s[2:3]
	s_cbranch_execz .LBB0_11
; %bb.10:
	v_add_u32_e32 v44, 0x800, v68
	ds_write2_b64 v44, v[48:49], v[50:51] offset0:4 offset1:134
	v_add_u32_e32 v44, 0x1000, v68
	ds_write2_b64 v44, v[56:57], v[58:59] offset0:8 offset1:138
	;; [unrolled: 2-line block ×4, first 2 shown]
	v_add_u32_e32 v44, 0x2800, v68
	ds_write2_b64 v68, v[40:41], v[42:43] offset1:130
	ds_write2_b64 v44, v[52:53], v[54:55] offset0:20 offset1:150
	ds_write_b64 v68, v[82:83] offset:12480
.LBB0_11:
	s_or_b64 exec, exec, s[0:1]
	s_waitcnt lgkmcnt(0)
	s_barrier
	s_and_saveexec_b64 s[0:1], s[2:3]
	s_cbranch_execz .LBB0_13
; %bb.12:
	v_mov_b32_e32 v69, 0
	v_lshl_add_u64 v[44:45], s[8:9], 0, v[68:69]
	v_add_co_u32_e32 v46, vcc, 0x3000, v44
	s_mov_b64 s[10:11], 0x34d0
	s_nop 0
	v_addc_co_u32_e32 v47, vcc, 0, v45, vcc
	global_load_dwordx2 v[46:47], v[46:47], off offset:1232
	v_lshl_add_u64 v[74:75], v[44:45], 0, s[10:11]
	s_movk_i32 s10, 0x4000
	global_load_dwordx2 v[92:93], v[74:75], off offset:1040
	global_load_dwordx2 v[94:95], v[74:75], off offset:2080
	global_load_dwordx2 v[96:97], v[74:75], off offset:3120
	v_add_co_u32_e32 v74, vcc, s10, v44
	s_movk_i32 s10, 0x5000
	s_nop 0
	v_addc_co_u32_e32 v75, vcc, 0, v45, vcc
	global_load_dwordx2 v[98:99], v[74:75], off offset:1296
	global_load_dwordx2 v[100:101], v[74:75], off offset:2336
	;; [unrolled: 1-line block ×3, first 2 shown]
	v_add_co_u32_e32 v74, vcc, s10, v44
	s_movk_i32 s10, 0x6000
	s_nop 0
	v_addc_co_u32_e32 v75, vcc, 0, v45, vcc
	global_load_dwordx2 v[104:105], v[74:75], off offset:320
	global_load_dwordx2 v[106:107], v[74:75], off offset:1360
	;; [unrolled: 1-line block ×4, first 2 shown]
	v_add_co_u32_e32 v44, vcc, s10, v44
	v_add_u32_e32 v69, 0x400, v68
	s_nop 0
	v_addc_co_u32_e32 v45, vcc, 0, v45, vcc
	global_load_dwordx2 v[112:113], v[44:45], off offset:384
	global_load_dwordx2 v[114:115], v[44:45], off offset:1424
	ds_read_b64 v[44:45], v68
	v_add_u32_e32 v118, 0xc00, v68
	v_add_u32_e32 v119, 0x1400, v68
	;; [unrolled: 1-line block ×4, first 2 shown]
	s_waitcnt vmcnt(12) lgkmcnt(0)
	v_mul_f32_e32 v74, v45, v47
	v_mul_f32_e32 v75, v44, v47
	v_fma_f32 v74, v44, v46, -v74
	v_fmac_f32_e32 v75, v45, v46
	ds_write_b64 v68, v[74:75]
	ds_read2_b64 v[44:47], v69 offset0:2 offset1:132
	ds_read2_b64 v[74:77], v118 offset0:6 offset1:136
	;; [unrolled: 1-line block ×5, first 2 shown]
	s_waitcnt vmcnt(11) lgkmcnt(4)
	v_mul_f32_e32 v116, v45, v93
	v_mul_f32_e32 v117, v44, v93
	s_waitcnt vmcnt(10)
	v_mul_f32_e32 v122, v47, v95
	v_mul_f32_e32 v93, v46, v95
	s_waitcnt vmcnt(9) lgkmcnt(3)
	v_mul_f32_e32 v123, v75, v97
	v_mul_f32_e32 v95, v74, v97
	s_waitcnt vmcnt(8)
	v_mul_f32_e32 v124, v77, v99
	v_mul_f32_e32 v97, v76, v99
	;; [unrolled: 6-line block ×4, first 2 shown]
	v_fma_f32 v116, v44, v92, -v116
	v_fmac_f32_e32 v117, v45, v92
	v_fma_f32 v92, v46, v94, -v122
	v_fmac_f32_e32 v93, v47, v94
	;; [unrolled: 2-line block ×8, first 2 shown]
	ds_write2_b64 v69, v[116:117], v[92:93] offset0:2 offset1:132
	ds_write2_b64 v118, v[94:95], v[96:97] offset0:6 offset1:136
	;; [unrolled: 1-line block ×4, first 2 shown]
	v_add_u32_e32 v76, 0x2c00, v68
	ds_read2_b64 v[44:47], v76 offset0:22 offset1:152
	s_waitcnt vmcnt(3) lgkmcnt(5)
	v_mul_f32_e32 v129, v89, v109
	v_mul_f32_e32 v107, v88, v109
	s_waitcnt vmcnt(2)
	v_mul_f32_e32 v69, v91, v111
	v_mul_f32_e32 v75, v90, v111
	v_fma_f32 v106, v88, v108, -v129
	v_fmac_f32_e32 v107, v89, v108
	v_fma_f32 v74, v90, v110, -v69
	v_fmac_f32_e32 v75, v91, v110
	ds_write2_b64 v121, v[106:107], v[74:75] offset0:18 offset1:148
	s_waitcnt vmcnt(1) lgkmcnt(1)
	v_mul_f32_e32 v69, v45, v113
	v_mul_f32_e32 v75, v44, v113
	v_fma_f32 v74, v44, v112, -v69
	v_fmac_f32_e32 v75, v45, v112
	s_waitcnt vmcnt(0)
	v_mul_f32_e32 v44, v47, v115
	v_mul_f32_e32 v45, v46, v115
	v_fma_f32 v44, v46, v114, -v44
	v_fmac_f32_e32 v45, v47, v114
	ds_write2_b64 v76, v[74:75], v[44:45] offset0:22 offset1:152
.LBB0_13:
	s_or_b64 exec, exec, s[0:1]
	s_waitcnt lgkmcnt(0)
	s_barrier
	s_and_saveexec_b64 s[0:1], s[2:3]
	s_cbranch_execz .LBB0_15
; %bb.14:
	v_add_u32_e32 v44, 0x800, v68
	ds_read2_b64 v[48:51], v44 offset0:4 offset1:134
	v_add_u32_e32 v44, 0x1000, v68
	ds_read2_b64 v[56:59], v44 offset0:8 offset1:138
	;; [unrolled: 2-line block ×4, first 2 shown]
	v_add_u32_e32 v44, 0x2800, v68
	ds_read2_b64 v[40:43], v68 offset1:130
	ds_read2_b64 v[52:55], v44 offset0:20 offset1:150
	ds_read_b64 v[82:83], v68 offset:12480
.LBB0_15:
	s_or_b64 exec, exec, s[0:1]
	s_waitcnt lgkmcnt(0)
	v_pk_add_f32 v[44:45], v[42:43], v[82:83] neg_lo:[0,1] neg_hi:[0,1]
	v_pk_add_f32 v[108:109], v[42:43], v[82:83]
	v_mov_b32_e32 v87, v44
	v_mov_b32_e32 v86, v108
	v_mov_b32_e32 v108, v45
	v_pk_add_f32 v[44:45], v[48:49], v[54:55] neg_lo:[0,1] neg_hi:[0,1]
	v_pk_add_f32 v[106:107], v[48:49], v[54:55]
	v_mov_b32_e32 v89, v44
	v_mov_b32_e32 v88, v106
	v_mov_b32_e32 v106, v45
	;; [unrolled: 5-line block ×4, first 2 shown]
	v_pk_add_f32 v[44:45], v[58:59], v[60:61] neg_lo:[0,1] neg_hi:[0,1]
	v_pk_add_f32 v[100:101], v[58:59], v[60:61]
	s_mov_b32 s19, 0x3f62ad3f
	s_mov_b32 s18, 0xbeedf032
	;; [unrolled: 1-line block ×3, first 2 shown]
	v_mov_b32_e32 v94, v100
	v_mov_b32_e32 v95, v44
	;; [unrolled: 1-line block ×3, first 2 shown]
	v_pk_add_f32 v[44:45], v[64:65], v[66:67] neg_lo:[0,1] neg_hi:[0,1]
	v_pk_add_f32 v[98:99], v[64:65], v[66:67]
	v_pk_mul_f32 v[112:113], v[108:109], s[18:19]
	s_mov_b32 s46, s19
	s_mov_b32 s47, s18
	;; [unrolled: 1-line block ×3, first 2 shown]
	v_mov_b32_e32 v96, v98
	v_mov_b32_e32 v97, v44
	;; [unrolled: 1-line block ×3, first 2 shown]
	v_pk_fma_f32 v[44:45], v[86:87], s[46:47], v[112:113] neg_lo:[0,0,1] neg_hi:[0,0,1]
	v_pk_fma_f32 v[114:115], v[86:87], s[46:47], v[112:113]
	v_pk_mul_f32 v[116:117], v[106:107], s[36:37]
	s_mov_b32 s10, s37
	s_mov_b32 s11, s36
	;; [unrolled: 1-line block ×3, first 2 shown]
	v_mov_b32_e32 v45, v115
	v_pk_fma_f32 v[46:47], v[88:89], s[10:11], v[116:117] neg_lo:[0,0,1] neg_hi:[0,0,1]
	v_pk_fma_f32 v[118:119], v[88:89], s[10:11], v[116:117]
	s_mov_b32 s43, 0x3df6dbef
	v_pk_add_f32 v[44:45], v[40:41], v[44:45]
	v_mov_b32_e32 v47, v119
	v_pk_mul_f32 v[120:121], v[104:105], s[42:43]
	s_mov_b32 s0, s43
	s_mov_b32 s1, s42
	;; [unrolled: 1-line block ×3, first 2 shown]
	v_pk_add_f32 v[44:45], v[46:47], v[44:45]
	v_pk_fma_f32 v[46:47], v[90:91], s[0:1], v[120:121] neg_lo:[0,0,1] neg_hi:[0,0,1]
	v_pk_fma_f32 v[122:123], v[90:91], s[0:1], v[120:121]
	s_mov_b32 s23, 0xbeb58ec6
	v_mov_b32_e32 v47, v123
	v_pk_mul_f32 v[124:125], v[102:103], s[22:23]
	s_mov_b32 s14, s23
	s_mov_b32 s15, s22
	;; [unrolled: 1-line block ×3, first 2 shown]
	v_pk_add_f32 v[44:45], v[46:47], v[44:45]
	v_pk_fma_f32 v[46:47], v[92:93], s[14:15], v[124:125] neg_lo:[0,0,1] neg_hi:[0,0,1]
	v_pk_fma_f32 v[126:127], v[92:93], s[14:15], v[124:125]
	s_mov_b32 s31, 0xbf3f9e67
	v_mov_b32_e32 v47, v127
	v_pk_mul_f32 v[128:129], v[100:101], s[30:31]
	s_mov_b32 s16, s31
	s_mov_b32 s17, s30
	v_pk_add_f32 v[44:45], v[46:47], v[44:45]
	v_pk_fma_f32 v[46:47], v[94:95], s[16:17], v[128:129] neg_lo:[0,0,1] neg_hi:[0,0,1]
	v_pk_fma_f32 v[130:131], v[94:95], s[16:17], v[128:129]
	v_pk_mul_f32 v[134:135], v[108:109], s[36:37]
	v_mov_b32_e32 v47, v131
	v_pk_add_f32 v[80:81], v[46:47], v[44:45]
	s_mov_b32 s38, 0xbe750f2a
	v_pk_fma_f32 v[44:45], v[86:87], s[10:11], v[134:135] neg_lo:[0,0,1] neg_hi:[0,0,1]
	v_pk_fma_f32 v[132:133], v[86:87], s[10:11], v[134:135]
	v_pk_mul_f32 v[138:139], v[106:107], s[22:23]
	s_mov_b32 s39, 0xbf788fa5
	v_mov_b32_e32 v45, v133
	v_pk_fma_f32 v[46:47], v[88:89], s[14:15], v[138:139] neg_lo:[0,0,1] neg_hi:[0,0,1]
	v_pk_fma_f32 v[136:137], v[88:89], s[14:15], v[138:139]
	s_mov_b32 s26, s39
	s_mov_b32 s27, s38
	v_pk_add_f32 v[44:45], v[40:41], v[44:45]
	v_mov_b32_e32 v47, v137
	v_pk_mul_f32 v[144:145], v[104:105], s[38:39]
	v_pk_add_f32 v[44:45], v[46:47], v[44:45]
	v_pk_fma_f32 v[46:47], v[90:91], s[26:27], v[144:145] neg_lo:[0,0,1] neg_hi:[0,0,1]
	v_pk_fma_f32 v[142:143], v[90:91], s[26:27], v[144:145]
	s_mov_b32 s44, 0x3f29c268
	s_mov_b32 s45, s31
	v_mov_b32_e32 v47, v143
	v_pk_mul_f32 v[146:147], v[102:103], s[44:45]
	s_mov_b32 s20, s31
	s_mov_b32 s21, s44
	v_pk_add_f32 v[44:45], v[46:47], v[44:45]
	v_pk_fma_f32 v[46:47], v[92:93], s[20:21], v[146:147] neg_lo:[0,0,1] neg_hi:[0,0,1]
	v_pk_fma_f32 v[148:149], v[92:93], s[20:21], v[146:147]
	s_mov_b32 s40, 0x3f7e222b
	s_mov_b32 s41, s43
	v_mov_b32_e32 v47, v149
	v_pk_mul_f32 v[150:151], v[100:101], s[40:41]
	s_mov_b32 s28, s43
	s_mov_b32 s29, s40
	v_pk_add_f32 v[44:45], v[46:47], v[44:45]
	v_pk_fma_f32 v[46:47], v[94:95], s[28:29], v[150:151] neg_lo:[0,0,1] neg_hi:[0,0,1]
	v_pk_fma_f32 v[152:153], v[94:95], s[28:29], v[150:151]
	s_mov_b32 s18, 0x3eedf032
	v_mov_b32_e32 v47, v153
	v_pk_mul_f32 v[154:155], v[98:99], s[18:19]
	s_mov_b32 s24, s19
	s_mov_b32 s25, s18
	v_pk_add_f32 v[44:45], v[46:47], v[44:45]
	v_pk_fma_f32 v[46:47], v[96:97], s[24:25], v[154:155] neg_lo:[0,0,1] neg_hi:[0,0,1]
	v_pk_fma_f32 v[158:159], v[96:97], s[24:25], v[154:155]
	v_pk_mul_f32 v[160:161], v[108:109], s[42:43]
	v_mov_b32_e32 v47, v159
	v_pk_add_f32 v[46:47], v[46:47], v[44:45]
	v_pk_fma_f32 v[44:45], v[86:87], s[0:1], v[160:161] neg_lo:[0,0,1] neg_hi:[0,0,1]
	v_pk_fma_f32 v[156:157], v[86:87], s[0:1], v[160:161]
	v_pk_mul_f32 v[164:165], v[106:107], s[38:39]
	v_mov_b32_e32 v45, v157
	v_pk_fma_f32 v[110:111], v[88:89], s[26:27], v[164:165] neg_lo:[0,0,1] neg_hi:[0,0,1]
	v_pk_fma_f32 v[162:163], v[88:89], s[26:27], v[164:165]
	s_mov_b32 s34, 0x3f6f5d39
	s_mov_b32 s35, s23
	v_pk_add_f32 v[44:45], v[40:41], v[44:45]
	v_mov_b32_e32 v111, v163
	v_pk_mul_f32 v[166:167], v[104:105], s[34:35]
	s_mov_b32 s48, s23
	s_mov_b32 s49, s34
	v_pk_add_f32 v[44:45], v[110:111], v[44:45]
	v_pk_fma_f32 v[110:111], v[90:91], s[48:49], v[166:167] neg_lo:[0,0,1] neg_hi:[0,0,1]
	v_pk_fma_f32 v[168:169], v[90:91], s[48:49], v[166:167]
	v_pk_mul_f32 v[172:173], v[102:103], s[18:19]
	v_mov_b32_e32 v111, v169
	v_pk_add_f32 v[44:45], v[110:111], v[44:45]
	v_pk_fma_f32 v[110:111], v[92:93], s[24:25], v[172:173] neg_lo:[0,0,1] neg_hi:[0,0,1]
	v_pk_fma_f32 v[170:171], v[92:93], s[24:25], v[172:173]
	v_pk_mul_f32 v[176:177], v[100:101], s[36:37]
	v_mov_b32_e32 v111, v171
	;; [unrolled: 5-line block ×4, first 2 shown]
	v_pk_add_f32 v[44:45], v[110:111], v[44:45]
	v_pk_fma_f32 v[110:111], v[96:97], s[26:27], v[140:141] neg_lo:[0,0,1] neg_hi:[0,0,1]
	v_pk_fma_f32 v[182:183], v[96:97], s[26:27], v[140:141]
	v_mov_b32_e32 v78, v10
	v_mov_b32_e32 v111, v183
	;; [unrolled: 1-line block ×13, first 2 shown]
	v_pk_add_f32 v[80:81], v[110:111], v[80:81]
	v_mov_b32_e32 v110, v72
	v_mov_b32_e32 v111, v72
	;; [unrolled: 1-line block ×3, first 2 shown]
	s_barrier
	s_and_saveexec_b64 s[34:35], s[2:3]
	s_cbranch_execz .LBB0_17
; %bb.16:
	v_pk_add_f32 v[42:43], v[42:43], v[40:41]
	v_pk_mul_f32 v[186:187], v[86:87], s[46:47]
	v_pk_add_f32 v[42:43], v[48:49], v[42:43]
	v_pk_mul_f32 v[188:189], v[88:89], s[10:11]
	v_pk_add_f32 v[42:43], v[50:51], v[42:43]
	v_pk_add_f32 v[48:49], v[112:113], v[186:187] neg_lo:[0,1] neg_hi:[0,1]
	v_pk_add_f32 v[42:43], v[56:57], v[42:43]
	v_pk_mul_f32 v[190:191], v[90:91], s[0:1]
	v_pk_add_f32 v[42:43], v[58:59], v[42:43]
	v_mov_b32_e32 v115, v49
	v_pk_add_f32 v[42:43], v[64:65], v[42:43]
	v_pk_add_f32 v[50:51], v[116:117], v[188:189] neg_lo:[0,1] neg_hi:[0,1]
	v_pk_mul_f32 v[192:193], v[92:93], s[14:15]
	v_pk_add_f32 v[42:43], v[66:67], v[42:43]
	v_pk_add_f32 v[48:49], v[40:41], v[114:115]
	v_mov_b32_e32 v119, v51
	v_pk_add_f32 v[50:51], v[120:121], v[190:191] neg_lo:[0,1] neg_hi:[0,1]
	v_pk_mul_f32 v[194:195], v[94:95], s[16:17]
	v_pk_add_f32 v[42:43], v[60:61], v[42:43]
	v_pk_add_f32 v[48:49], v[118:119], v[48:49]
	v_mov_b32_e32 v123, v51
	;; [unrolled: 5-line block ×3, first 2 shown]
	v_pk_add_f32 v[50:51], v[128:129], v[194:195] neg_lo:[0,1] neg_hi:[0,1]
	v_pk_add_f32 v[42:43], v[52:53], v[42:43]
	v_pk_add_f32 v[48:49], v[126:127], v[48:49]
	v_mov_b32_e32 v131, v51
	v_pk_add_f32 v[50:51], v[140:141], v[196:197] neg_lo:[0,1] neg_hi:[0,1]
	v_pk_add_f32 v[42:43], v[54:55], v[42:43]
	v_pk_add_f32 v[48:49], v[130:131], v[48:49]
	v_mov_b32_e32 v183, v51
	v_pk_mul_f32 v[200:201], v[88:89], s[14:15]
	v_lshlrev_b32_e32 v69, 3, v185
	v_pk_add_f32 v[42:43], v[82:83], v[42:43]
	v_pk_add_f32 v[48:49], v[182:183], v[48:49]
	v_pk_mul_f32 v[202:203], v[90:91], s[26:27]
	ds_write2_b64 v69, v[42:43], v[48:49] offset1:1
	v_pk_add_f32 v[48:49], v[138:139], v[200:201] neg_lo:[0,1] neg_hi:[0,1]
	v_pk_mul_f32 v[204:205], v[92:93], s[20:21]
	v_mov_b32_e32 v137, v49
	v_pk_add_f32 v[48:49], v[144:145], v[202:203] neg_lo:[0,1] neg_hi:[0,1]
	v_pk_mul_f32 v[206:207], v[94:95], s[28:29]
	v_mov_b32_e32 v143, v49
	;; [unrolled: 3-line block ×3, first 2 shown]
	v_pk_add_f32 v[48:49], v[150:151], v[206:207] neg_lo:[0,1] neg_hi:[0,1]
	v_pk_mul_f32 v[198:199], v[86:87], s[10:11]
	v_pk_mul_f32 v[210:211], v[86:87], s[0:1]
	v_mov_b32_e32 v153, v49
	v_pk_add_f32 v[48:49], v[154:155], v[208:209] neg_lo:[0,1] neg_hi:[0,1]
	v_pk_mul_f32 v[212:213], v[88:89], s[26:27]
	v_pk_add_f32 v[42:43], v[134:135], v[198:199] neg_lo:[0,1] neg_hi:[0,1]
	v_mov_b32_e32 v159, v49
	v_pk_add_f32 v[48:49], v[160:161], v[210:211] neg_lo:[0,1] neg_hi:[0,1]
	v_pk_mul_f32 v[214:215], v[90:91], s[48:49]
	v_mov_b32_e32 v133, v43
	v_mov_b32_e32 v157, v49
	v_pk_add_f32 v[50:51], v[164:165], v[212:213] neg_lo:[0,1] neg_hi:[0,1]
	v_pk_mul_f32 v[216:217], v[92:93], s[24:25]
	v_pk_add_f32 v[42:43], v[40:41], v[132:133]
	v_pk_add_f32 v[48:49], v[40:41], v[156:157]
	v_mov_b32_e32 v163, v51
	v_pk_add_f32 v[50:51], v[166:167], v[214:215] neg_lo:[0,1] neg_hi:[0,1]
	v_pk_mul_f32 v[218:219], v[94:95], s[10:11]
	v_pk_add_f32 v[42:43], v[136:137], v[42:43]
	v_pk_add_f32 v[48:49], v[162:163], v[48:49]
	;; [unrolled: 5-line block ×3, first 2 shown]
	v_mov_b32_e32 v171, v51
	v_pk_add_f32 v[50:51], v[176:177], v[218:219] neg_lo:[0,1] neg_hi:[0,1]
	v_pk_add_f32 v[42:43], v[148:149], v[42:43]
	v_pk_add_f32 v[48:49], v[170:171], v[48:49]
	v_mov_b32_e32 v175, v51
	v_pk_add_f32 v[50:51], v[180:181], v[220:221] neg_lo:[0,1] neg_hi:[0,1]
	v_pk_add_f32 v[42:43], v[152:153], v[42:43]
	v_pk_add_f32 v[48:49], v[174:175], v[48:49]
	v_mov_b32_e32 v179, v51
	v_pk_add_f32 v[42:43], v[158:159], v[42:43]
	v_pk_add_f32 v[48:49], v[178:179], v[48:49]
	ds_write2_b64 v69, v[42:43], v[48:49] offset0:2 offset1:3
	v_pk_mul_f32 v[42:43], v[108:109], s[22:23]
	v_pk_mul_f32 v[52:53], v[106:107], s[44:45]
	v_pk_fma_f32 v[48:49], v[86:87], s[14:15], v[42:43]
	v_pk_fma_f32 v[50:51], v[86:87], s[14:15], v[42:43] neg_lo:[1,0,0] neg_hi:[1,0,0]
	v_pk_fma_f32 v[54:55], v[88:89], s[20:21], v[52:53]
	v_mov_b32_e32 v50, v48
	v_pk_fma_f32 v[56:57], v[88:89], s[20:21], v[52:53] neg_lo:[1,0,0] neg_hi:[1,0,0]
	v_pk_add_f32 v[50:51], v[40:41], v[50:51]
	v_mov_b32_e32 v56, v54
	v_pk_add_f32 v[50:51], v[56:57], v[50:51]
	v_pk_mul_f32 v[56:57], v[104:105], s[18:19]
	s_mov_b32 s47, s39
	v_pk_fma_f32 v[58:59], v[90:91], s[24:25], v[56:57]
	v_pk_fma_f32 v[60:61], v[90:91], s[24:25], v[56:57] neg_lo:[1,0,0] neg_hi:[1,0,0]
	s_mov_b32 s45, 0x3f52af12
	v_mov_b32_e32 v60, v58
	v_pk_add_f32 v[50:51], v[60:61], v[50:51]
	v_pk_mul_f32 v[60:61], v[102:103], s[42:43]
	s_mov_b32 s43, 0x3e750f2a
	v_pk_fma_f32 v[62:63], v[92:93], s[0:1], v[60:61]
	v_pk_fma_f32 v[64:65], v[92:93], s[0:1], v[60:61] neg_lo:[1,0,0] neg_hi:[1,0,0]
	s_mov_b32 s46, s43
	v_mov_b32_e32 v64, v62
	v_pk_add_f32 v[50:51], v[64:65], v[50:51]
	s_mov_b32 s42, s39
	v_pk_mul_f32 v[64:65], v[100:101], s[46:47]
	s_mov_b32 s48, s45
	v_pk_fma_f32 v[66:67], v[94:95], s[42:43], v[64:65]
	v_pk_fma_f32 v[82:83], v[94:95], s[42:43], v[64:65] neg_lo:[1,0,0] neg_hi:[1,0,0]
	s_mov_b32 s49, s37
	v_mov_b32_e32 v82, v66
	v_pk_add_f32 v[50:51], v[82:83], v[50:51]
	s_mov_b32 s44, s37
	v_pk_mul_f32 v[82:83], v[98:99], s[48:49]
	v_pk_mul_f32 v[120:121], v[106:107], s[40:41]
	v_pk_fma_f32 v[112:113], v[96:97], s[44:45], v[82:83]
	v_pk_fma_f32 v[114:115], v[96:97], s[44:45], v[82:83] neg_lo:[1,0,0] neg_hi:[1,0,0]
	v_pk_fma_f32 v[122:123], v[88:89], s[28:29], v[120:121]
	v_mov_b32_e32 v114, v112
	v_pk_add_f32 v[50:51], v[114:115], v[50:51]
	v_pk_mul_f32 v[114:115], v[108:109], s[30:31]
	v_pk_fma_f32 v[124:125], v[88:89], s[28:29], v[120:121] neg_lo:[1,0,0] neg_hi:[1,0,0]
	v_pk_fma_f32 v[116:117], v[86:87], s[16:17], v[114:115]
	v_pk_fma_f32 v[118:119], v[86:87], s[16:17], v[114:115] neg_lo:[1,0,0] neg_hi:[1,0,0]
	v_mov_b32_e32 v124, v122
	v_mov_b32_e32 v118, v116
	v_pk_add_f32 v[118:119], v[40:41], v[118:119]
	v_pk_mul_f32 v[106:107], v[106:107], s[18:19]
	v_pk_add_f32 v[118:119], v[124:125], v[118:119]
	v_pk_mul_f32 v[124:125], v[104:105], s[36:37]
	v_pk_fma_f32 v[142:143], v[88:89], s[24:25], v[106:107] neg_lo:[1,0,0] neg_hi:[1,0,0]
	v_pk_fma_f32 v[126:127], v[90:91], s[10:11], v[124:125]
	v_pk_fma_f32 v[128:129], v[90:91], s[10:11], v[124:125] neg_lo:[1,0,0] neg_hi:[1,0,0]
	v_pk_mul_f32 v[104:105], v[104:105], s[30:31]
	v_mov_b32_e32 v128, v126
	v_pk_add_f32 v[118:119], v[128:129], v[118:119]
	v_pk_mul_f32 v[128:129], v[102:103], s[46:47]
	v_pk_fma_f32 v[144:145], v[90:91], s[16:17], v[104:105] neg_lo:[1,0,0] neg_hi:[1,0,0]
	v_pk_fma_f32 v[130:131], v[92:93], s[42:43], v[128:129]
	v_pk_fma_f32 v[132:133], v[92:93], s[42:43], v[128:129] neg_lo:[1,0,0] neg_hi:[1,0,0]
	v_pk_mul_f32 v[102:103], v[102:103], s[48:49]
	v_mov_b32_e32 v132, v130
	;; [unrolled: 7-line block ×4, first 2 shown]
	v_pk_add_f32 v[118:119], v[140:141], v[118:119]
	ds_write2_b64 v69, v[50:51], v[118:119] offset0:4 offset1:5
	v_pk_mul_f32 v[50:51], v[108:109], s[38:39]
	v_pk_fma_f32 v[140:141], v[88:89], s[24:25], v[106:107]
	v_pk_fma_f32 v[108:109], v[86:87], s[26:27], v[50:51]
	v_pk_fma_f32 v[118:119], v[86:87], s[26:27], v[50:51] neg_lo:[1,0,0] neg_hi:[1,0,0]
	v_mov_b32_e32 v142, v140
	v_mov_b32_e32 v118, v108
	v_pk_add_f32 v[118:119], v[40:41], v[118:119]
	v_pk_fma_f32 v[50:51], v[86:87], s[26:27], v[50:51] neg_lo:[0,0,1] neg_hi:[0,0,1]
	v_pk_add_f32 v[118:119], v[142:143], v[118:119]
	v_pk_fma_f32 v[142:143], v[90:91], s[16:17], v[104:105]
	v_mov_b32_e32 v51, v109
	v_mov_b32_e32 v144, v142
	v_pk_add_f32 v[118:119], v[144:145], v[118:119]
	v_pk_fma_f32 v[144:145], v[92:93], s[44:45], v[102:103]
	v_pk_fma_f32 v[106:107], v[88:89], s[24:25], v[106:107] neg_lo:[0,0,1] neg_hi:[0,0,1]
	v_mov_b32_e32 v146, v144
	v_pk_add_f32 v[50:51], v[40:41], v[50:51]
	v_mov_b32_e32 v107, v141
	v_pk_fma_f32 v[104:105], v[90:91], s[16:17], v[104:105] neg_lo:[0,0,1] neg_hi:[0,0,1]
	v_pk_add_f32 v[118:119], v[146:147], v[118:119]
	v_pk_fma_f32 v[146:147], v[94:95], s[14:15], v[100:101]
	v_pk_add_f32 v[50:51], v[106:107], v[50:51]
	v_mov_b32_e32 v105, v143
	v_pk_fma_f32 v[102:103], v[92:93], s[44:45], v[102:103] neg_lo:[0,0,1] neg_hi:[0,0,1]
	v_mov_b32_e32 v148, v146
	v_pk_add_f32 v[50:51], v[104:105], v[50:51]
	v_mov_b32_e32 v103, v145
	v_pk_fma_f32 v[100:101], v[94:95], s[14:15], v[100:101] neg_lo:[0,0,1] neg_hi:[0,0,1]
	v_pk_add_f32 v[118:119], v[148:149], v[118:119]
	v_pk_fma_f32 v[148:149], v[96:97], s[28:29], v[98:99]
	v_pk_fma_f32 v[150:151], v[96:97], s[28:29], v[98:99] neg_lo:[1,0,0] neg_hi:[1,0,0]
	v_pk_add_f32 v[50:51], v[102:103], v[50:51]
	v_mov_b32_e32 v101, v147
	v_pk_fma_f32 v[98:99], v[96:97], s[28:29], v[98:99] neg_lo:[0,0,1] neg_hi:[0,0,1]
	v_mov_b32_e32 v150, v148
	v_pk_add_f32 v[50:51], v[100:101], v[50:51]
	v_mov_b32_e32 v99, v149
	v_pk_add_f32 v[118:119], v[150:151], v[118:119]
	v_pk_add_f32 v[50:51], v[98:99], v[50:51]
	ds_write2_b64 v69, v[118:119], v[50:51] offset0:6 offset1:7
	v_pk_fma_f32 v[50:51], v[86:87], s[16:17], v[114:115] neg_lo:[0,0,1] neg_hi:[0,0,1]
	v_pk_fma_f32 v[42:43], v[86:87], s[14:15], v[42:43] neg_lo:[0,0,1] neg_hi:[0,0,1]
	v_mov_b32_e32 v51, v117
	v_mov_b32_e32 v43, v49
	v_pk_add_f32 v[50:51], v[40:41], v[50:51]
	v_pk_fma_f32 v[98:99], v[88:89], s[28:29], v[120:121] neg_lo:[0,0,1] neg_hi:[0,0,1]
	v_pk_add_f32 v[40:41], v[40:41], v[42:43]
	v_pk_fma_f32 v[42:43], v[88:89], s[20:21], v[52:53] neg_lo:[0,0,1] neg_hi:[0,0,1]
	v_mov_b32_e32 v99, v123
	v_mov_b32_e32 v43, v55
	v_pk_add_f32 v[50:51], v[98:99], v[50:51]
	v_pk_fma_f32 v[98:99], v[90:91], s[10:11], v[124:125] neg_lo:[0,0,1] neg_hi:[0,0,1]
	v_pk_add_f32 v[40:41], v[42:43], v[40:41]
	;; [unrolled: 6-line block ×5, first 2 shown]
	v_pk_fma_f32 v[42:43], v[96:97], s[44:45], v[82:83] neg_lo:[0,0,1] neg_hi:[0,0,1]
	v_mov_b32_e32 v99, v139
	v_mov_b32_e32 v43, v113
	v_pk_add_f32 v[50:51], v[98:99], v[50:51]
	v_pk_add_f32 v[40:41], v[42:43], v[40:41]
	ds_write2_b64 v69, v[50:51], v[40:41] offset0:8 offset1:9
	ds_write2_b64 v69, v[44:45], v[46:47] offset0:10 offset1:11
	ds_write_b64 v69, v[80:81] offset:96
.LBB0_17:
	s_or_b64 exec, exec, s[34:35]
	s_waitcnt lgkmcnt(0)
	s_barrier
	ds_read2_b64 v[40:43], v68 offset1:169
	v_add_u32_e32 v49, 0x800, v68
	ds_read2_b64 v[54:57], v49 offset0:82 offset1:251
	v_mov_b32_e32 v58, v9
	v_add_u32_e32 v48, 0x2800, v68
	s_waitcnt lgkmcnt(1)
	v_pk_mul_f32 v[64:65], v[8:9], v[42:43]
	v_pk_mul_f32 v[66:67], v[58:59], v[42:43] op_sel:[0,1] op_sel_hi:[1,0]
	v_pk_mul_f32 v[8:9], v[8:9], v[42:43] op_sel:[0,1] op_sel_hi:[1,0]
	v_mov_b32_e32 v42, v5
	s_waitcnt lgkmcnt(0)
	v_pk_mul_f32 v[42:43], v[42:43], v[56:57] op_sel:[0,1] op_sel_hi:[1,0]
	v_mov_b32_e32 v60, v8
	v_add_u32_e32 v8, 0x1400, v68
	v_pk_fma_f32 v[42:43], v[4:5], v[56:57], v[42:43]
	v_pk_mul_f32 v[4:5], v[4:5], v[56:57] op_sel:[0,1] op_sel_hi:[1,0]
	ds_read2_b64 v[56:59], v8 offset0:36 offset1:205
	v_mov_b32_e32 v61, v4
	v_mov_b32_e32 v4, v9
	v_add_u32_e32 v8, 0x1e00, v68
	v_pk_add_f32 v[4:5], v[60:61], v[4:5] neg_lo:[0,1] neg_hi:[0,1]
	ds_read2_b64 v[60:63], v8 offset0:54 offset1:223
	v_mov_b32_e32 v9, v0
	s_waitcnt lgkmcnt(1)
	v_pk_mul_f32 v[8:9], v[8:9], v[58:59] op_sel:[0,1] op_sel_hi:[1,0]
	v_pk_mul_f32 v[82:83], v[0:1], v[58:59]
	v_mov_b32_e32 v8, v13
	v_pk_mul_f32 v[0:1], v[0:1], v[58:59] op_sel:[0,1] op_sel_hi:[1,0]
	s_waitcnt lgkmcnt(0)
	v_pk_mul_f32 v[58:59], v[8:9], v[62:63] op_sel:[0,1] op_sel_hi:[1,0]
	ds_read2_b64 v[50:53], v48 offset0:72 offset1:241
	v_pk_fma_f32 v[58:59], v[12:13], v[62:63], v[58:59]
	v_pk_mul_f32 v[12:13], v[12:13], v[62:63] op_sel:[0,1] op_sel_hi:[1,0]
	v_mov_b32_e32 v62, v0
	v_mov_b32_e32 v63, v12
	;; [unrolled: 1-line block ×3, first 2 shown]
	v_pk_add_f32 v[0:1], v[62:63], v[12:13] neg_lo:[0,1] neg_hi:[0,1]
	s_waitcnt lgkmcnt(0)
	v_pk_mul_f32 v[14:15], v[14:15], v[50:51]
	v_mov_b32_e32 v8, v1
	v_pk_add_f32 v[12:13], v[0:1], v[8:9] neg_lo:[0,1] neg_hi:[0,1]
	v_add_f32_e32 v8, v0, v1
	v_fma_f32 v69, -0.5, v8, v4
	v_mov_b32_e32 v8, v5
	v_pk_fma_f32 v[86:87], v[84:85], v[50:51], v[14:15] op_sel:[0,0,1] op_sel_hi:[1,1,0]
	v_pk_fma_f32 v[14:15], v[84:85], v[50:51], v[14:15] op_sel:[0,0,1] op_sel_hi:[1,1,0] neg_lo:[0,0,1] neg_hi:[0,0,1]
	v_pk_add_f32 v[88:89], v[8:9], v[0:1] neg_lo:[0,1] neg_hi:[0,1]
	v_pk_add_f32 v[8:9], v[8:9], v[82:83]
	v_mov_b32_e32 v87, v15
	v_pk_mul_f32 v[14:15], v[72:73], v[52:53]
	v_mov_b32_e32 v65, v9
	v_mov_b32_e32 v67, v58
	;; [unrolled: 1-line block ×3, first 2 shown]
	v_pk_fma_f32 v[50:51], v[110:111], v[52:53], v[14:15] op_sel:[0,0,1] op_sel_hi:[1,1,0]
	v_pk_fma_f32 v[14:15], v[110:111], v[52:53], v[14:15] op_sel:[0,0,1] op_sel_hi:[1,1,0] neg_lo:[0,0,1] neg_hi:[0,0,1]
	v_pk_add_f32 v[64:65], v[64:65], v[66:67]
	v_pk_add_f32 v[62:63], v[12:13], v[4:5]
	v_mov_b32_e32 v51, v15
	v_pk_add_f32 v[66:67], v[64:65], v[42:43]
	v_pk_add_f32 v[72:73], v[42:43], v[50:51] neg_lo:[0,1] neg_hi:[0,1]
	v_pk_add_f32 v[84:85], v[14:15], v[0:1] neg_lo:[0,1] neg_hi:[0,1]
	v_mov_b32_e32 v67, v63
	v_mov_b32_e32 v43, v50
	;; [unrolled: 1-line block ×4, first 2 shown]
	v_add_f32_e32 v13, v42, v50
	v_pk_add_f32 v[82:83], v[42:43], v[62:63] neg_lo:[0,1] neg_hi:[0,1]
	v_pk_add_f32 v[42:43], v[62:63], v[42:43] neg_lo:[0,1] neg_hi:[0,1]
	v_mov_b32_e32 v62, v85
	v_pk_add_f32 v[84:85], v[88:89], v[62:63]
	v_pk_add_f32 v[62:63], v[8:9], v[62:63] neg_lo:[0,1] neg_hi:[0,1]
	v_mov_b32_e32 v8, v83
	v_pk_add_f32 v[52:53], v[4:5], v[50:51] neg_lo:[0,1] neg_hi:[0,1]
	v_pk_add_f32 v[82:83], v[82:83], v[8:9]
	v_fma_f32 v52, -0.5, v13, v64
	v_fmac_f32_e32 v64, -0.5, v65
	v_mov_b32_e32 v83, v12
	s_mov_b32 s11, 0x3f167918
	s_mov_b32 s10, 0x3e9e377a
	v_fmamk_f32 v90, v12, 0x3f737871, v52
	v_fmac_f32_e32 v52, 0xbf737871, v12
	v_fmamk_f32 v14, v53, 0xbf737871, v64
	v_pk_mul_f32 v[12:13], v[82:83], s[10:11]
	v_fmac_f32_e32 v64, 0x3f737871, v53
	v_sub_f32_e32 v8, v14, v13
	v_add_f32_e32 v13, v13, v64
	v_mov_b32_e32 v14, v43
	v_mov_b32_e32 v64, v9
	;; [unrolled: 1-line block ×4, first 2 shown]
	v_pk_add_f32 v[42:43], v[42:43], v[14:15]
	v_pk_add_f32 v[64:65], v[66:67], v[64:65]
	v_mov_b32_e32 v85, v63
	v_mov_b32_e32 v43, v53
	v_pk_add_f32 v[58:59], v[64:65], v[58:59]
	v_fmamk_f32 v73, v72, 0x3f737871, v69
	v_pk_mul_f32 v[42:43], v[42:43], s[10:11]
	v_pk_add_f32 v[50:51], v[58:59], v[50:51]
	v_pk_mul_f32 v[58:59], v[84:85], s[10:11]
	v_add_f32_e32 v8, v12, v8
	v_add_f32_e32 v12, v12, v13
	v_sub_f32_e32 v13, v90, v43
	v_add_f32_e32 v14, v43, v52
	v_add_f32_e32 v9, v59, v73
	v_fmac_f32_e32 v69, 0xbf737871, v72
	v_add_f32_e32 v52, v42, v13
	v_add_f32_e32 v42, v42, v14
	;; [unrolled: 1-line block ×3, first 2 shown]
	v_sub_f32_e32 v9, v69, v59
	v_mov_b32_e32 v14, v5
	v_add_f32_e32 v58, v58, v9
	v_add_f32_e32 v9, v5, v15
	v_pk_add_f32 v[0:1], v[0:1], v[14:15] neg_lo:[0,1] neg_hi:[0,1]
	v_fma_f32 v9, -0.5, v9, v4
	v_mov_b32_e32 v4, v1
	v_pk_add_f32 v[0:1], v[0:1], v[4:5]
	v_fmamk_f32 v13, v63, 0xbf737871, v9
	v_mov_b32_e32 v1, v72
	v_pk_mul_f32 v[0:1], v[0:1], s[10:11]
	v_fmac_f32_e32 v9, 0x3f737871, v63
	v_add_f32_e32 v4, v1, v13
	v_sub_f32_e32 v1, v9, v1
	v_add_f32_e32 v4, v0, v4
	v_add_f32_e32 v14, v0, v1
	v_pk_mul_f32 v[0:1], v[10:11], v[54:55]
	s_mov_b32 s16, 0x3f4f1bbd
	v_pk_fma_f32 v[10:11], v[78:79], v[54:55], v[0:1] op_sel:[0,0,1] op_sel_hi:[1,1,0]
	v_pk_fma_f32 v[0:1], v[78:79], v[54:55], v[0:1] op_sel:[0,0,1] op_sel_hi:[1,1,0] neg_lo:[0,0,1] neg_hi:[0,0,1]
	s_mov_b32 s0, 0x3f737871
	v_mov_b32_e32 v11, v1
	v_pk_mul_f32 v[0:1], v[6:7], v[56:57]
	v_pk_add_f32 v[64:65], v[10:11], v[86:87] neg_lo:[0,1] neg_hi:[0,1]
	v_pk_fma_f32 v[6:7], v[76:77], v[56:57], v[0:1] op_sel:[0,0,1] op_sel_hi:[1,1,0]
	v_pk_fma_f32 v[0:1], v[76:77], v[56:57], v[0:1] op_sel:[0,0,1] op_sel_hi:[1,1,0] neg_lo:[0,0,1] neg_hi:[0,0,1]
	s_mov_b32 s18, s11
	v_mov_b32_e32 v7, v1
	v_pk_mul_f32 v[0:1], v[2:3], v[60:61]
	s_mov_b32 s19, s16
	v_pk_fma_f32 v[54:55], v[74:75], v[60:61], v[0:1] op_sel:[0,0,1] op_sel_hi:[1,1,0]
	v_pk_fma_f32 v[0:1], v[74:75], v[60:61], v[0:1] op_sel:[0,0,1] op_sel_hi:[1,1,0] neg_lo:[0,0,1] neg_hi:[0,0,1]
	v_pk_add_f32 v[60:61], v[10:11], v[6:7] neg_lo:[0,1] neg_hi:[0,1]
	v_mov_b32_e32 v55, v1
	v_pk_add_f32 v[0:1], v[40:41], v[10:11]
	v_pk_add_f32 v[56:57], v[6:7], v[54:55] neg_lo:[0,1] neg_hi:[0,1]
	v_pk_add_f32 v[2:3], v[6:7], v[54:55]
	v_pk_mul_f32 v[66:67], v[64:65], s[0:1] op_sel_hi:[1,0]
	v_pk_add_f32 v[0:1], v[0:1], v[6:7]
	s_mov_b32 s17, s11
	v_pk_mul_f32 v[62:63], v[62:63], s[18:19] op_sel_hi:[0,1]
	s_mov_b32 s1, s10
	v_pk_add_f32 v[6:7], v[6:7], v[10:11] neg_lo:[0,1] neg_hi:[0,1]
	v_pk_add_f32 v[10:11], v[10:11], v[86:87]
	v_pk_fma_f32 v[2:3], v[2:3], 0.5, v[40:41] op_sel_hi:[1,0,1] neg_lo:[1,0,0] neg_hi:[1,0,0]
	s_mov_b32 s14, s11
	v_pk_add_f32 v[72:73], v[86:87], v[54:55] neg_lo:[0,1] neg_hi:[0,1]
	v_pk_add_f32 v[0:1], v[0:1], v[54:55]
	v_pk_fma_f32 v[76:77], v[8:9], s[16:17], v[62:63] neg_lo:[0,0,1] neg_hi:[0,0,1]
	v_pk_fma_f32 v[8:9], v[8:9], s[16:17], v[62:63] op_sel_hi:[0,1,1]
	s_mov_b32 s16, 0xbe9e377a
	s_mov_b32 s17, s0
	v_pk_mul_f32 v[14:15], v[14:15], s[0:1] op_sel_hi:[0,1]
	v_pk_fma_f32 v[10:11], v[10:11], 0.5, v[40:41] op_sel_hi:[1,0,1] neg_lo:[1,0,0] neg_hi:[1,0,0]
	v_pk_add_f32 v[40:41], v[54:55], v[86:87] neg_lo:[0,1] neg_hi:[0,1]
	v_pk_add_f32 v[60:61], v[60:61], v[72:73]
	v_pk_add_f32 v[72:73], v[0:1], v[86:87]
	v_pk_add_f32 v[0:1], v[2:3], v[66:67] op_sel:[0,1] op_sel_hi:[1,0]
	v_pk_add_f32 v[2:3], v[2:3], v[66:67] op_sel:[0,1] op_sel_hi:[1,0] neg_lo:[0,1] neg_hi:[0,1]
	v_pk_fma_f32 v[42:43], v[42:43], s[16:17], v[14:15] op_sel_hi:[0,1,1] neg_lo:[0,0,1] neg_hi:[0,0,1]
	v_pk_mul_f32 v[14:15], v[64:65], s[14:15] op_sel_hi:[1,0]
	v_pk_add_f32 v[6:7], v[6:7], v[40:41]
	v_pk_fma_f32 v[40:41], v[56:57], s[0:1], v[10:11] op_sel:[1,0,0] op_sel_hi:[0,0,1] neg_lo:[1,0,0] neg_hi:[1,0,0]
	v_pk_fma_f32 v[10:11], v[56:57], s[0:1], v[10:11] op_sel:[1,0,0] op_sel_hi:[0,0,1]
	v_pk_fma_f32 v[2:3], v[56:57], s[14:15], v[2:3] op_sel:[1,0,0] op_sel_hi:[0,0,1] neg_lo:[1,0,0] neg_hi:[1,0,0]
	v_pk_fma_f32 v[66:67], v[56:57], s[14:15], v[0:1] op_sel:[1,0,0] op_sel_hi:[0,0,1]
	v_pk_add_f32 v[10:11], v[10:11], v[14:15] op_sel:[0,1] op_sel_hi:[1,0] neg_lo:[0,1] neg_hi:[0,1]
	v_pk_add_f32 v[14:15], v[40:41], v[14:15] op_sel:[0,1] op_sel_hi:[1,0]
	v_mov_b32_e32 v0, v66
	v_mov_b32_e32 v1, v3
	;; [unrolled: 1-line block ×5, first 2 shown]
	s_mov_b32 s14, s10
	s_mov_b32 s15, s0
	v_pk_mul_f32 v[4:5], v[4:5], s[0:1] op_sel_hi:[0,1]
	v_mov_b32_e32 v11, v15
	v_pk_fma_f32 v[74:75], v[60:61], s[10:11], v[0:1] op_sel_hi:[1,0,1]
	v_mov_b32_e32 v77, v9
	v_pk_fma_f32 v[8:9], v[60:61], s[10:11], v[2:3] op_sel_hi:[1,0,1]
	v_pk_fma_f32 v[40:41], v[6:7], s[10:11], v[40:41] op_sel_hi:[1,0,1]
	v_pk_fma_f32 v[54:55], v[52:53], s[14:15], v[4:5] neg_lo:[0,0,1] neg_hi:[0,0,1]
	v_pk_fma_f32 v[4:5], v[52:53], s[14:15], v[4:5] op_sel_hi:[0,1,1]
	v_pk_fma_f32 v[10:11], v[6:7], s[10:11], v[10:11] op_sel_hi:[1,0,1]
	s_mov_b32 s10, 0xbf4f1bbd
	v_pk_mul_f32 v[14:15], v[58:59], s[18:19] op_sel_hi:[0,1]
	v_mov_b32_e32 v55, v5
	v_pk_fma_f32 v[52:53], v[12:13], s[10:11], v[14:15] op_sel_hi:[0,1,1] neg_lo:[0,0,1] neg_hi:[0,0,1]
	v_pk_add_f32 v[0:1], v[72:73], v[50:51]
	v_pk_add_f32 v[2:3], v[8:9], v[76:77]
	;; [unrolled: 1-line block ×5, first 2 shown]
	v_pk_add_f32 v[14:15], v[72:73], v[50:51] neg_lo:[0,1] neg_hi:[0,1]
	v_pk_add_f32 v[8:9], v[8:9], v[76:77] neg_lo:[0,1] neg_hi:[0,1]
	;; [unrolled: 1-line block ×5, first 2 shown]
	s_barrier
	ds_write2_b64 v184, v[0:1], v[2:3] offset1:13
	ds_write2_b64 v184, v[4:5], v[6:7] offset0:26 offset1:39
	ds_write2_b64 v184, v[12:13], v[14:15] offset0:52 offset1:65
	ds_write2_b64 v184, v[8:9], v[10:11] offset0:78 offset1:91
	ds_write2_b64 v184, v[40:41], v[42:43] offset0:104 offset1:117
	s_waitcnt lgkmcnt(0)
	s_barrier
	s_and_saveexec_b64 s[0:1], s[2:3]
	s_cbranch_execz .LBB0_19
; %bb.18:
	v_add_u32_e32 v8, 0x1000, v68
	ds_read2_b64 v[0:3], v68 offset1:130
	ds_read2_b64 v[4:7], v49 offset0:4 offset1:134
	ds_read2_b64 v[12:15], v8 offset0:8 offset1:138
	v_add_u32_e32 v8, 0x1800, v68
	v_add_u32_e32 v40, 0x2000, v68
	ds_read2_b64 v[8:11], v8 offset0:12 offset1:142
	ds_read2_b64 v[40:43], v40 offset0:16 offset1:146
	;; [unrolled: 1-line block ×3, first 2 shown]
	ds_read_b64 v[80:81], v68 offset:12480
.LBB0_19:
	s_or_b64 exec, exec, s[0:1]
	s_and_saveexec_b64 s[0:1], s[2:3]
	s_cbranch_execz .LBB0_21
; %bb.20:
	s_waitcnt lgkmcnt(0)
	v_pk_mul_f32 v[48:49], v[38:39], v[80:81] op_sel:[0,1]
	v_pk_mul_f32 v[52:53], v[36:37], v[46:47] op_sel:[0,1]
	v_pk_fma_f32 v[76:77], v[38:39], v[80:81], v[48:49] op_sel:[0,0,1] op_sel_hi:[1,1,0]
	v_pk_fma_f32 v[38:39], v[38:39], v[80:81], v[48:49] op_sel:[0,0,1] op_sel_hi:[1,0,0] neg_lo:[1,0,0] neg_hi:[1,0,0]
	v_pk_mul_f32 v[56:57], v[34:35], v[44:45] op_sel:[0,1]
	v_pk_mul_f32 v[62:63], v[18:19], v[12:13] op_sel_hi:[1,0]
	v_mov_b32_e32 v77, v39
	v_pk_fma_f32 v[38:39], v[36:37], v[46:47], v[52:53] op_sel:[0,0,1] op_sel_hi:[1,1,0]
	v_pk_fma_f32 v[36:37], v[36:37], v[46:47], v[52:53] op_sel:[0,0,1] op_sel_hi:[1,0,0] neg_lo:[1,0,0] neg_hi:[1,0,0]
	v_pk_mul_f32 v[60:61], v[32:33], v[42:43] op_sel:[0,1]
	v_mov_b32_e32 v39, v37
	v_pk_fma_f32 v[36:37], v[34:35], v[44:45], v[56:57] op_sel:[0,0,1] op_sel_hi:[1,1,0]
	v_pk_fma_f32 v[34:35], v[34:35], v[44:45], v[56:57] op_sel:[0,0,1] op_sel_hi:[1,0,0] neg_lo:[1,0,0] neg_hi:[1,0,0]
	v_pk_fma_f32 v[44:45], v[18:19], v[12:13], v[62:63] op_sel:[1,1,0] op_sel_hi:[0,1,1]
	v_pk_fma_f32 v[12:13], v[18:19], v[12:13], v[62:63] op_sel:[1,1,0] op_sel_hi:[0,1,1] neg_lo:[0,0,1] neg_hi:[0,0,1]
	v_pk_mul_f32 v[66:67], v[28:29], v[14:15] op_sel:[0,1]
	v_mov_b32_e32 v45, v13
	v_pk_fma_f32 v[46:47], v[32:33], v[42:43], v[60:61] op_sel:[0,0,1] op_sel_hi:[1,1,0]
	v_pk_fma_f32 v[12:13], v[32:33], v[42:43], v[60:61] op_sel:[0,0,1] op_sel_hi:[1,0,0] neg_lo:[1,0,0] neg_hi:[1,0,0]
	v_pk_mul_f32 v[64:65], v[26:27], v[40:41] op_sel:[0,1]
	v_pk_mul_f32 v[74:75], v[30:31], v[8:9] op_sel:[0,1]
	v_mov_b32_e32 v47, v13
	v_pk_fma_f32 v[32:33], v[28:29], v[14:15], v[66:67] op_sel:[0,0,1] op_sel_hi:[1,1,0]
	v_pk_fma_f32 v[12:13], v[28:29], v[14:15], v[66:67] op_sel:[0,0,1] op_sel_hi:[1,0,0] neg_lo:[1,0,0] neg_hi:[1,0,0]
	v_pk_mul_f32 v[72:73], v[24:25], v[10:11] op_sel:[0,1]
	v_mov_b32_e32 v33, v13
	v_pk_fma_f32 v[28:29], v[26:27], v[40:41], v[64:65] op_sel:[0,0,1] op_sel_hi:[1,1,0]
	v_pk_fma_f32 v[12:13], v[26:27], v[40:41], v[64:65] op_sel:[0,0,1] op_sel_hi:[1,0,0] neg_lo:[1,0,0] neg_hi:[1,0,0]
	v_pk_fma_f32 v[26:27], v[30:31], v[8:9], v[74:75] op_sel:[0,0,1] op_sel_hi:[1,1,0]
	v_pk_fma_f32 v[8:9], v[30:31], v[8:9], v[74:75] op_sel:[0,0,1] op_sel_hi:[1,0,0] neg_lo:[1,0,0] neg_hi:[1,0,0]
	v_pk_mul_f32 v[50:51], v[20:21], v[2:3] op_sel_hi:[1,0]
	v_mov_b32_e32 v27, v9
	v_pk_fma_f32 v[30:31], v[24:25], v[10:11], v[72:73] op_sel:[0,0,1] op_sel_hi:[1,1,0]
	v_pk_fma_f32 v[8:9], v[24:25], v[10:11], v[72:73] op_sel:[0,0,1] op_sel_hi:[1,0,0] neg_lo:[1,0,0] neg_hi:[1,0,0]
	v_pk_mul_f32 v[54:55], v[22:23], v[4:5] op_sel:[0,1]
	v_mov_b32_e32 v31, v9
	v_pk_fma_f32 v[8:9], v[20:21], v[2:3], v[50:51] op_sel:[1,1,0] op_sel_hi:[0,1,1]
	v_pk_fma_f32 v[2:3], v[20:21], v[2:3], v[50:51] op_sel:[1,1,0] op_sel_hi:[0,1,1] neg_lo:[0,0,1] neg_hi:[0,0,1]
	v_mov_b32_e32 v9, v3
	v_pk_mul_f32 v[58:59], v[16:17], v[6:7] op_sel:[0,1]
	v_pk_fma_f32 v[52:53], v[22:23], v[4:5], v[54:55] op_sel:[0,0,1] op_sel_hi:[1,1,0]
	v_pk_fma_f32 v[2:3], v[22:23], v[4:5], v[54:55] op_sel:[0,0,1] op_sel_hi:[1,0,0] neg_lo:[1,0,0] neg_hi:[1,0,0]
	v_pk_add_f32 v[60:61], v[8:9], v[76:77] neg_lo:[0,1] neg_hi:[0,1]
	s_mov_b32 s10, 0xbeedf032
	v_mov_b32_e32 v53, v3
	v_pk_fma_f32 v[54:55], v[16:17], v[6:7], v[58:59] op_sel:[0,0,1] op_sel_hi:[1,1,0]
	v_pk_fma_f32 v[2:3], v[16:17], v[6:7], v[58:59] op_sel:[0,0,1] op_sel_hi:[1,0,0] neg_lo:[1,0,0] neg_hi:[1,0,0]
	v_pk_add_f32 v[58:59], v[76:77], v[8:9]
	s_mov_b32 s16, 0x3f62ad3f
	v_pk_mul_f32 v[4:5], v[60:61], s[10:11] op_sel_hi:[1,0]
	v_mov_b32_e32 v55, v3
	v_pk_add_f32 v[64:65], v[52:53], v[38:39] neg_lo:[0,1] neg_hi:[0,1]
	v_pk_fma_f32 v[2:3], v[58:59], s[16:17], v[4:5] op_sel:[0,0,1] op_sel_hi:[1,0,0]
	v_pk_fma_f32 v[4:5], v[58:59], s[16:17], v[4:5] op_sel:[0,0,1] op_sel_hi:[1,0,0] neg_lo:[0,0,1] neg_hi:[0,0,1]
	s_mov_b32 s26, 0xbf52af12
	v_pk_add_f32 v[56:57], v[8:9], v[0:1]
	v_pk_add_f32 v[62:63], v[38:39], v[52:53]
	v_mov_b32_e32 v6, v2
	v_mov_b32_e32 v7, v5
	s_mov_b32 s14, 0x3f116cb1
	v_pk_mul_f32 v[8:9], v[64:65], s[26:27] op_sel_hi:[1,0]
	v_mov_b32_e32 v37, v35
	v_pk_add_f32 v[10:11], v[0:1], v[6:7]
	v_pk_fma_f32 v[6:7], v[62:63], s[14:15], v[8:9] op_sel:[0,0,1] op_sel_hi:[1,0,0]
	v_pk_fma_f32 v[8:9], v[62:63], s[14:15], v[8:9] op_sel:[0,0,1] op_sel_hi:[1,0,0] neg_lo:[0,0,1] neg_hi:[0,0,1]
	v_mov_b32_e32 v29, v13
	v_pk_add_f32 v[72:73], v[54:55], v[36:37] neg_lo:[0,1] neg_hi:[0,1]
	v_mov_b32_e32 v12, v6
	v_mov_b32_e32 v13, v9
	s_mov_b32 s36, 0xbf7e222b
	v_pk_add_f32 v[66:67], v[36:37], v[54:55]
	v_pk_add_f32 v[14:15], v[12:13], v[10:11]
	s_mov_b32 s10, 0x3df6dbef
	v_pk_mul_f32 v[12:13], v[72:73], s[36:37] op_sel_hi:[1,0]
	v_pk_add_f32 v[74:75], v[44:45], v[46:47] neg_lo:[0,1] neg_hi:[0,1]
	v_pk_fma_f32 v[10:11], v[66:67], s[10:11], v[12:13] op_sel:[0,0,1] op_sel_hi:[1,0,0]
	v_pk_fma_f32 v[12:13], v[66:67], s[10:11], v[12:13] op_sel:[0,0,1] op_sel_hi:[1,0,0] neg_lo:[0,0,1] neg_hi:[0,0,1]
	v_mov_b32_e32 v16, v10
	v_mov_b32_e32 v17, v13
	s_mov_b32 s20, 0xbf6f5d39
	v_pk_add_f32 v[52:53], v[52:53], v[56:57]
	v_pk_add_f32 v[50:51], v[46:47], v[44:45]
	v_pk_add_f32 v[18:19], v[16:17], v[14:15]
	s_mov_b32 s18, 0xbeb58ec6
	v_pk_mul_f32 v[16:17], v[74:75], s[20:21] op_sel_hi:[1,0]
	v_pk_add_f32 v[52:53], v[54:55], v[52:53]
	v_pk_fma_f32 v[14:15], v[50:51], s[18:19], v[16:17] op_sel:[0,0,1] op_sel_hi:[1,0,0]
	v_pk_fma_f32 v[16:17], v[50:51], s[18:19], v[16:17] op_sel:[0,0,1] op_sel_hi:[1,0,0] neg_lo:[0,0,1] neg_hi:[0,0,1]
	v_pk_add_f32 v[44:45], v[44:45], v[52:53]
	v_pk_add_f32 v[42:43], v[28:29], v[32:33]
	v_pk_add_f32 v[48:49], v[32:33], v[28:29] neg_lo:[0,1] neg_hi:[0,1]
	v_mov_b32_e32 v20, v14
	v_mov_b32_e32 v21, v17
	s_mov_b32 s24, 0xbf29c268
	v_pk_add_f32 v[32:33], v[32:33], v[44:45]
	v_pk_add_f32 v[34:35], v[30:31], v[26:27]
	v_pk_add_f32 v[40:41], v[26:27], v[30:31] neg_lo:[0,1] neg_hi:[0,1]
	v_pk_add_f32 v[22:23], v[20:21], v[18:19]
	s_mov_b32 s22, 0xbf3f9e67
	v_pk_mul_f32 v[20:21], v[48:49], s[24:25] op_sel_hi:[1,0]
	v_pk_add_f32 v[26:27], v[26:27], v[32:33]
	v_pk_fma_f32 v[18:19], v[42:43], s[22:23], v[20:21] op_sel:[0,0,1] op_sel_hi:[1,0,0]
	v_pk_fma_f32 v[20:21], v[42:43], s[22:23], v[20:21] op_sel:[0,0,1] op_sel_hi:[1,0,0] neg_lo:[0,0,1] neg_hi:[0,0,1]
	v_pk_add_f32 v[26:27], v[30:31], v[26:27]
	v_mov_b32_e32 v24, v18
	v_mov_b32_e32 v25, v21
	s_mov_b32 s30, 0xbe750f2a
	v_pk_add_f32 v[26:27], v[28:29], v[26:27]
	v_pk_add_f32 v[78:79], v[24:25], v[22:23]
	s_mov_b32 s28, 0xbf788fa5
	v_pk_mul_f32 v[24:25], v[40:41], s[30:31] op_sel_hi:[1,0]
	v_pk_add_f32 v[26:27], v[46:47], v[26:27]
	v_pk_fma_f32 v[22:23], v[34:35], s[28:29], v[24:25] op_sel:[0,0,1] op_sel_hi:[1,0,0]
	v_pk_fma_f32 v[24:25], v[34:35], s[28:29], v[24:25] op_sel:[0,0,1] op_sel_hi:[1,0,0] neg_lo:[0,0,1] neg_hi:[0,0,1]
	v_pk_add_f32 v[26:27], v[36:37], v[26:27]
	v_mov_b32_e32 v80, v22
	v_mov_b32_e32 v81, v25
	v_pk_add_f32 v[26:27], v[38:39], v[26:27]
	v_pk_add_f32 v[78:79], v[80:81], v[78:79]
	;; [unrolled: 1-line block ×3, first 2 shown]
	v_pk_mul_f32 v[28:29], v[60:61], s[26:27] op_sel_hi:[1,0]
	ds_write2_b64 v68, v[26:27], v[78:79] offset1:130
	v_pk_fma_f32 v[26:27], v[58:59], s[14:15], v[28:29] op_sel:[0,0,1] op_sel_hi:[1,0,0]
	v_pk_fma_f32 v[28:29], v[58:59], s[14:15], v[28:29] op_sel:[0,0,1] op_sel_hi:[1,0,0] neg_lo:[0,0,1] neg_hi:[0,0,1]
	v_mov_b32_e32 v30, v26
	v_mov_b32_e32 v31, v29
	v_pk_mul_f32 v[32:33], v[64:65], s[20:21] op_sel_hi:[1,0]
	v_pk_add_f32 v[36:37], v[0:1], v[30:31]
	v_pk_fma_f32 v[30:31], v[62:63], s[18:19], v[32:33] op_sel:[0,0,1] op_sel_hi:[1,0,0]
	v_pk_fma_f32 v[32:33], v[62:63], s[18:19], v[32:33] op_sel:[0,0,1] op_sel_hi:[1,0,0] neg_lo:[0,0,1] neg_hi:[0,0,1]
	v_mov_b32_e32 v38, v30
	v_mov_b32_e32 v39, v33
	v_pk_add_f32 v[44:45], v[38:39], v[36:37]
	v_pk_mul_f32 v[38:39], v[72:73], s[30:31] op_sel_hi:[1,0]
	s_mov_b32 s40, 0x3f29c268
	v_pk_fma_f32 v[36:37], v[66:67], s[28:29], v[38:39] op_sel:[0,0,1] op_sel_hi:[1,0,0]
	v_pk_fma_f32 v[38:39], v[66:67], s[28:29], v[38:39] op_sel:[0,0,1] op_sel_hi:[1,0,0] neg_lo:[0,0,1] neg_hi:[0,0,1]
	v_mov_b32_e32 v46, v36
	v_mov_b32_e32 v47, v39
	v_pk_add_f32 v[52:53], v[46:47], v[44:45]
	v_pk_mul_f32 v[46:47], v[74:75], s[40:41] op_sel_hi:[1,0]
	s_mov_b32 s34, 0x3f7e222b
	;; [unrolled: 7-line block ×3, first 2 shown]
	v_pk_fma_f32 v[56:57], v[42:43], s[10:11], v[54:55] op_sel:[0,0,1] op_sel_hi:[1,0,0]
	v_pk_fma_f32 v[54:55], v[42:43], s[10:11], v[54:55] op_sel:[0,0,1] op_sel_hi:[1,0,0] neg_lo:[0,0,1] neg_hi:[0,0,1]
	v_mov_b32_e32 v76, v56
	v_mov_b32_e32 v77, v55
	v_pk_add_f32 v[52:53], v[76:77], v[52:53]
	v_pk_mul_f32 v[76:77], v[40:41], s[38:39] op_sel_hi:[1,0]
	v_pk_mul_f32 v[86:87], v[64:65], s[30:31] op_sel_hi:[1,0]
	v_pk_fma_f32 v[78:79], v[34:35], s[16:17], v[76:77] op_sel:[0,0,1] op_sel_hi:[1,0,0]
	v_pk_fma_f32 v[76:77], v[34:35], s[16:17], v[76:77] op_sel:[0,0,1] op_sel_hi:[1,0,0] neg_lo:[0,0,1] neg_hi:[0,0,1]
	v_mov_b32_e32 v80, v78
	v_mov_b32_e32 v81, v77
	v_pk_add_f32 v[52:53], v[80:81], v[52:53]
	v_pk_mul_f32 v[80:81], v[60:61], s[36:37] op_sel_hi:[1,0]
	v_pk_fma_f32 v[88:89], v[62:63], s[28:29], v[86:87] op_sel:[0,0,1] op_sel_hi:[1,0,0]
	v_pk_fma_f32 v[82:83], v[58:59], s[10:11], v[80:81] op_sel:[0,0,1] op_sel_hi:[1,0,0]
	v_pk_fma_f32 v[80:81], v[58:59], s[10:11], v[80:81] op_sel:[0,0,1] op_sel_hi:[1,0,0] neg_lo:[0,0,1] neg_hi:[0,0,1]
	v_mov_b32_e32 v84, v82
	v_mov_b32_e32 v85, v81
	v_pk_fma_f32 v[86:87], v[62:63], s[28:29], v[86:87] op_sel:[0,0,1] op_sel_hi:[1,0,0] neg_lo:[0,0,1] neg_hi:[0,0,1]
	v_pk_add_f32 v[84:85], v[0:1], v[84:85]
	v_mov_b32_e32 v90, v88
	v_mov_b32_e32 v91, v87
	s_mov_b32 s42, 0x3f6f5d39
	v_pk_add_f32 v[84:85], v[90:91], v[84:85]
	v_pk_mul_f32 v[90:91], v[72:73], s[42:43] op_sel_hi:[1,0]
	v_add_u32_e32 v2, 0x800, v68
	v_pk_fma_f32 v[92:93], v[66:67], s[18:19], v[90:91] op_sel:[0,0,1] op_sel_hi:[1,0,0]
	v_pk_fma_f32 v[90:91], v[66:67], s[18:19], v[90:91] op_sel:[0,0,1] op_sel_hi:[1,0,0] neg_lo:[0,0,1] neg_hi:[0,0,1]
	v_mov_b32_e32 v94, v92
	v_mov_b32_e32 v95, v91
	v_pk_add_f32 v[84:85], v[94:95], v[84:85]
	v_pk_mul_f32 v[94:95], v[74:75], s[38:39] op_sel_hi:[1,0]
	v_pk_mul_f32 v[108:109], v[64:65], s[40:41] op_sel_hi:[1,0]
	v_pk_fma_f32 v[96:97], v[50:51], s[16:17], v[94:95] op_sel:[0,0,1] op_sel_hi:[1,0,0]
	v_pk_fma_f32 v[94:95], v[50:51], s[16:17], v[94:95] op_sel:[0,0,1] op_sel_hi:[1,0,0] neg_lo:[0,0,1] neg_hi:[0,0,1]
	v_mov_b32_e32 v98, v96
	v_mov_b32_e32 v99, v95
	v_pk_add_f32 v[84:85], v[98:99], v[84:85]
	v_pk_mul_f32 v[98:99], v[48:49], s[26:27] op_sel_hi:[1,0]
	v_pk_fma_f32 v[110:111], v[62:63], s[22:23], v[108:109] op_sel:[0,0,1] op_sel_hi:[1,0,0]
	v_pk_fma_f32 v[100:101], v[42:43], s[14:15], v[98:99] op_sel:[0,0,1] op_sel_hi:[1,0,0]
	v_pk_fma_f32 v[98:99], v[42:43], s[14:15], v[98:99] op_sel:[0,0,1] op_sel_hi:[1,0,0] neg_lo:[0,0,1] neg_hi:[0,0,1]
	v_mov_b32_e32 v102, v100
	v_mov_b32_e32 v103, v99
	v_pk_add_f32 v[84:85], v[102:103], v[84:85]
	v_pk_mul_f32 v[102:103], v[40:41], s[24:25] op_sel_hi:[1,0]
	v_pk_fma_f32 v[108:109], v[62:63], s[22:23], v[108:109] op_sel:[0,0,1] op_sel_hi:[1,0,0] neg_lo:[0,0,1] neg_hi:[0,0,1]
	v_pk_fma_f32 v[104:105], v[34:35], s[22:23], v[102:103] op_sel:[0,0,1] op_sel_hi:[1,0,0]
	v_pk_fma_f32 v[102:103], v[34:35], s[22:23], v[102:103] op_sel:[0,0,1] op_sel_hi:[1,0,0] neg_lo:[0,0,1] neg_hi:[0,0,1]
	v_mov_b32_e32 v106, v104
	v_mov_b32_e32 v107, v103
	v_pk_add_f32 v[84:85], v[106:107], v[84:85]
	ds_write2_b64 v2, v[52:53], v[84:85] offset0:4 offset1:134
	v_pk_mul_f32 v[52:53], v[60:61], s[20:21] op_sel_hi:[1,0]
	v_mov_b32_e32 v112, v110
	v_pk_fma_f32 v[84:85], v[58:59], s[18:19], v[52:53] op_sel:[0,0,1] op_sel_hi:[1,0,0]
	v_pk_fma_f32 v[52:53], v[58:59], s[18:19], v[52:53] op_sel:[0,0,1] op_sel_hi:[1,0,0] neg_lo:[0,0,1] neg_hi:[0,0,1]
	v_mov_b32_e32 v106, v84
	v_mov_b32_e32 v107, v53
	v_pk_add_f32 v[106:107], v[0:1], v[106:107]
	v_mov_b32_e32 v113, v109
	v_pk_add_f32 v[106:107], v[112:113], v[106:107]
	v_pk_mul_f32 v[112:113], v[72:73], s[38:39] op_sel_hi:[1,0]
	s_mov_b32 s40, 0x3f52af12
	v_pk_fma_f32 v[114:115], v[66:67], s[16:17], v[112:113] op_sel:[0,0,1] op_sel_hi:[1,0,0]
	v_pk_fma_f32 v[112:113], v[66:67], s[16:17], v[112:113] op_sel:[0,0,1] op_sel_hi:[1,0,0] neg_lo:[0,0,1] neg_hi:[0,0,1]
	v_mov_b32_e32 v116, v114
	v_mov_b32_e32 v117, v113
	v_pk_add_f32 v[106:107], v[116:117], v[106:107]
	v_pk_mul_f32 v[116:117], v[74:75], s[36:37] op_sel_hi:[1,0]
	s_mov_b32 s36, 0x3e750f2a
	v_pk_fma_f32 v[118:119], v[50:51], s[10:11], v[116:117] op_sel:[0,0,1] op_sel_hi:[1,0,0]
	v_pk_fma_f32 v[116:117], v[50:51], s[10:11], v[116:117] op_sel:[0,0,1] op_sel_hi:[1,0,0] neg_lo:[0,0,1] neg_hi:[0,0,1]
	v_mov_b32_e32 v120, v118
	v_mov_b32_e32 v121, v117
	v_pk_add_f32 v[106:107], v[120:121], v[106:107]
	v_pk_mul_f32 v[120:121], v[48:49], s[36:37] op_sel_hi:[1,0]
	v_pk_mul_f32 v[134:135], v[64:65], s[34:35] op_sel_hi:[1,0]
	v_pk_fma_f32 v[122:123], v[42:43], s[28:29], v[120:121] op_sel:[0,0,1] op_sel_hi:[1,0,0]
	v_pk_fma_f32 v[120:121], v[42:43], s[28:29], v[120:121] op_sel:[0,0,1] op_sel_hi:[1,0,0] neg_lo:[0,0,1] neg_hi:[0,0,1]
	v_mov_b32_e32 v124, v122
	v_mov_b32_e32 v125, v121
	v_pk_add_f32 v[106:107], v[124:125], v[106:107]
	v_pk_mul_f32 v[124:125], v[40:41], s[40:41] op_sel_hi:[1,0]
	v_pk_fma_f32 v[136:137], v[62:63], s[10:11], v[134:135] op_sel:[0,0,1] op_sel_hi:[1,0,0]
	v_pk_fma_f32 v[126:127], v[34:35], s[14:15], v[124:125] op_sel:[0,0,1] op_sel_hi:[1,0,0]
	v_pk_fma_f32 v[124:125], v[34:35], s[14:15], v[124:125] op_sel:[0,0,1] op_sel_hi:[1,0,0] neg_lo:[0,0,1] neg_hi:[0,0,1]
	v_mov_b32_e32 v128, v126
	v_mov_b32_e32 v129, v125
	v_pk_add_f32 v[106:107], v[128:129], v[106:107]
	v_pk_mul_f32 v[128:129], v[60:61], s[24:25] op_sel_hi:[1,0]
	v_pk_fma_f32 v[134:135], v[62:63], s[10:11], v[134:135] op_sel:[0,0,1] op_sel_hi:[1,0,0] neg_lo:[0,0,1] neg_hi:[0,0,1]
	v_pk_fma_f32 v[130:131], v[58:59], s[22:23], v[128:129] op_sel:[0,0,1] op_sel_hi:[1,0,0]
	v_pk_fma_f32 v[128:129], v[58:59], s[22:23], v[128:129] op_sel:[0,0,1] op_sel_hi:[1,0,0] neg_lo:[0,0,1] neg_hi:[0,0,1]
	v_mov_b32_e32 v132, v130
	v_mov_b32_e32 v133, v129
	v_pk_add_f32 v[132:133], v[0:1], v[132:133]
	v_mov_b32_e32 v138, v136
	v_mov_b32_e32 v139, v135
	v_pk_add_f32 v[132:133], v[138:139], v[132:133]
	v_pk_mul_f32 v[138:139], v[72:73], s[26:27] op_sel_hi:[1,0]
	v_add_u32_e32 v2, 0x1000, v68
	v_pk_fma_f32 v[140:141], v[66:67], s[14:15], v[138:139] op_sel:[0,0,1] op_sel_hi:[1,0,0]
	v_pk_fma_f32 v[138:139], v[66:67], s[14:15], v[138:139] op_sel:[0,0,1] op_sel_hi:[1,0,0] neg_lo:[0,0,1] neg_hi:[0,0,1]
	v_mov_b32_e32 v142, v140
	v_mov_b32_e32 v143, v139
	v_pk_add_f32 v[132:133], v[142:143], v[132:133]
	v_pk_mul_f32 v[142:143], v[74:75], s[36:37] op_sel_hi:[1,0]
	v_pk_mul_f32 v[60:61], v[60:61], s[30:31] op_sel_hi:[1,0]
	v_pk_fma_f32 v[144:145], v[50:51], s[28:29], v[142:143] op_sel:[0,0,1] op_sel_hi:[1,0,0]
	v_pk_fma_f32 v[142:143], v[50:51], s[28:29], v[142:143] op_sel:[0,0,1] op_sel_hi:[1,0,0] neg_lo:[0,0,1] neg_hi:[0,0,1]
	v_mov_b32_e32 v146, v144
	v_mov_b32_e32 v147, v143
	v_pk_add_f32 v[132:133], v[146:147], v[132:133]
	v_pk_mul_f32 v[146:147], v[48:49], s[38:39] op_sel_hi:[1,0]
	v_pk_mul_f32 v[64:65], v[64:65], s[38:39] op_sel_hi:[1,0]
	;; [unrolled: 7-line block ×3, first 2 shown]
	v_pk_fma_f32 v[152:153], v[34:35], s[18:19], v[150:151] op_sel:[0,0,1] op_sel_hi:[1,0,0]
	v_pk_fma_f32 v[150:151], v[34:35], s[18:19], v[150:151] op_sel:[0,0,1] op_sel_hi:[1,0,0] neg_lo:[0,0,1] neg_hi:[0,0,1]
	v_mov_b32_e32 v154, v152
	v_mov_b32_e32 v155, v151
	v_pk_add_f32 v[132:133], v[154:155], v[132:133]
	ds_write2_b64 v2, v[106:107], v[132:133] offset0:8 offset1:138
	v_pk_fma_f32 v[106:107], v[58:59], s[28:29], v[60:61] op_sel:[0,0,1] op_sel_hi:[1,0,0]
	v_pk_fma_f32 v[58:59], v[58:59], s[28:29], v[60:61] op_sel:[0,0,1] op_sel_hi:[1,0,0] neg_lo:[0,0,1] neg_hi:[0,0,1]
	v_mov_b32_e32 v60, v106
	v_mov_b32_e32 v61, v59
	v_pk_fma_f32 v[132:133], v[62:63], s[16:17], v[64:65] op_sel:[0,0,1] op_sel_hi:[1,0,0]
	v_pk_fma_f32 v[62:63], v[62:63], s[16:17], v[64:65] op_sel:[0,0,1] op_sel_hi:[1,0,0] neg_lo:[0,0,1] neg_hi:[0,0,1]
	v_pk_add_f32 v[60:61], v[0:1], v[60:61]
	v_mov_b32_e32 v64, v132
	v_mov_b32_e32 v65, v63
	v_pk_add_f32 v[60:61], v[64:65], v[60:61]
	v_pk_mul_f32 v[64:65], v[72:73], s[24:25] op_sel_hi:[1,0]
	v_pk_mul_f32 v[40:41], v[40:41], s[34:35] op_sel_hi:[1,0]
	v_pk_fma_f32 v[72:73], v[66:67], s[22:23], v[64:65] op_sel:[0,0,1] op_sel_hi:[1,0,0]
	v_pk_fma_f32 v[64:65], v[66:67], s[22:23], v[64:65] op_sel:[0,0,1] op_sel_hi:[1,0,0] neg_lo:[0,0,1] neg_hi:[0,0,1]
	v_mov_b32_e32 v66, v72
	v_mov_b32_e32 v67, v65
	v_pk_add_f32 v[60:61], v[66:67], v[60:61]
	v_pk_mul_f32 v[66:67], v[74:75], s[40:41] op_sel_hi:[1,0]
	v_mov_b32_e32 v59, v107
	v_pk_fma_f32 v[74:75], v[50:51], s[14:15], v[66:67] op_sel:[0,0,1] op_sel_hi:[1,0,0]
	v_pk_fma_f32 v[50:51], v[50:51], s[14:15], v[66:67] op_sel:[0,0,1] op_sel_hi:[1,0,0] neg_lo:[0,0,1] neg_hi:[0,0,1]
	v_mov_b32_e32 v66, v74
	v_mov_b32_e32 v67, v51
	v_pk_add_f32 v[60:61], v[66:67], v[60:61]
	v_pk_fma_f32 v[66:67], v[42:43], s[18:19], v[48:49] op_sel:[0,0,1] op_sel_hi:[1,0,0]
	v_pk_fma_f32 v[42:43], v[42:43], s[18:19], v[48:49] op_sel:[0,0,1] op_sel_hi:[1,0,0] neg_lo:[0,0,1] neg_hi:[0,0,1]
	v_mov_b32_e32 v48, v66
	v_mov_b32_e32 v49, v43
	v_pk_add_f32 v[48:49], v[48:49], v[60:61]
	v_pk_fma_f32 v[60:61], v[34:35], s[10:11], v[40:41] op_sel:[0,0,1] op_sel_hi:[1,0,0]
	v_pk_fma_f32 v[34:35], v[34:35], s[10:11], v[40:41] op_sel:[0,0,1] op_sel_hi:[1,0,0] neg_lo:[0,0,1] neg_hi:[0,0,1]
	v_mov_b32_e32 v40, v60
	v_mov_b32_e32 v41, v35
	v_pk_add_f32 v[40:41], v[40:41], v[48:49]
	v_pk_add_f32 v[48:49], v[0:1], v[58:59]
	v_mov_b32_e32 v63, v133
	v_pk_add_f32 v[48:49], v[62:63], v[48:49]
	v_mov_b32_e32 v65, v73
	;; [unrolled: 2-line block ×5, first 2 shown]
	v_pk_add_f32 v[34:35], v[34:35], v[42:43]
	v_add_u32_e32 v2, 0x1800, v68
	v_mov_b32_e32 v129, v131
	v_mov_b32_e32 v53, v85
	ds_write2_b64 v2, v[40:41], v[34:35] offset0:12 offset1:142
	v_pk_add_f32 v[34:35], v[0:1], v[128:129]
	v_mov_b32_e32 v135, v137
	v_pk_add_f32 v[40:41], v[0:1], v[52:53]
	v_mov_b32_e32 v109, v111
	;; [unrolled: 2-line block ×10, first 2 shown]
	v_pk_add_f32 v[34:35], v[150:151], v[34:35]
	v_pk_add_f32 v[40:41], v[124:125], v[40:41]
	v_add_u32_e32 v2, 0x2000, v68
	v_mov_b32_e32 v81, v83
	v_mov_b32_e32 v29, v27
	;; [unrolled: 1-line block ×3, first 2 shown]
	ds_write2_b64 v2, v[34:35], v[40:41] offset0:16 offset1:146
	v_pk_add_f32 v[34:35], v[0:1], v[80:81]
	v_mov_b32_e32 v87, v89
	v_pk_add_f32 v[26:27], v[0:1], v[28:29]
	v_mov_b32_e32 v33, v31
	;; [unrolled: 2-line block ×15, first 2 shown]
	v_pk_add_f32 v[34:35], v[102:103], v[34:35]
	v_pk_add_f32 v[26:27], v[76:77], v[26:27]
	v_add_u32_e32 v2, 0x2800, v68
	v_pk_add_f32 v[0:1], v[24:25], v[0:1]
	ds_write2_b64 v2, v[34:35], v[26:27] offset0:20 offset1:150
	ds_write_b64 v68, v[0:1] offset:12480
.LBB0_21:
	s_or_b64 exec, exec, s[0:1]
	s_waitcnt lgkmcnt(0)
	s_barrier
	s_and_b64 exec, exec, s[2:3]
	s_cbranch_execz .LBB0_23
; %bb.22:
	global_load_dwordx2 v[10:11], v68, s[8:9]
	global_load_dwordx2 v[12:13], v68, s[8:9] offset:1040
	global_load_dwordx2 v[14:15], v68, s[8:9] offset:2080
	;; [unrolled: 1-line block ×3, first 2 shown]
	v_mov_b32_e32 v69, 0
	v_mad_u64_u32 v[24:25], s[2:3], s4, v71, 0
	s_movk_i32 s2, 0x1000
	v_lshl_add_u64 v[0:1], s[8:9], 0, v[68:69]
	v_add_co_u32_e32 v26, vcc, s2, v0
	v_add_u32_e32 v2, 0x400, v68
	s_nop 0
	v_addc_co_u32_e32 v27, vcc, 0, v1, vcc
	global_load_dwordx2 v[28:29], v[26:27], off offset:64
	v_add_u32_e32 v6, 0xc00, v68
	ds_read_b64 v[18:19], v68
	ds_read2_b64 v[2:5], v2 offset0:2 offset1:132
	ds_read2_b64 v[6:9], v6 offset0:6 offset1:136
	global_load_dwordx2 v[34:35], v[26:27], off offset:1104
	v_mad_u64_u32 v[22:23], s[0:1], s6, v70, 0
	v_mov_b32_e32 v30, v23
	v_mov_b32_e32 v32, v25
	v_mad_u64_u32 v[30:31], s[6:7], s7, v70, v[30:31]
	v_mad_u64_u32 v[32:33], s[6:7], s5, v71, v[32:33]
	v_mov_b32_e32 v23, v30
	v_mov_b32_e32 v25, v32
	global_load_dwordx2 v[30:31], v[26:27], off offset:2144
	global_load_dwordx2 v[32:33], v[26:27], off offset:3184
	s_mov_b32 s0, 0x622898b1
	s_movk_i32 s3, 0x2000
	s_mov_b32 s1, 0x3f4363ac
	v_add_co_u32_e32 v36, vcc, s3, v0
	v_mov_b32_e32 v20, s12
	s_nop 0
	v_addc_co_u32_e32 v37, vcc, 0, v1, vcc
	v_mov_b32_e32 v21, s13
	v_lshl_add_u64 v[20:21], v[22:23], 3, v[20:21]
	v_mov_b32_e32 v38, 0x410
	v_lshl_add_u64 v[20:21], v[24:25], 3, v[20:21]
	s_mul_i32 s2, s5, 0x410
	v_mad_u64_u32 v[22:23], s[6:7], s4, v38, v[20:21]
	v_add_u32_e32 v23, s2, v23
	v_mad_u64_u32 v[24:25], s[6:7], s4, v38, v[22:23]
	v_add_u32_e32 v25, s2, v25
	s_movk_i32 s3, 0x3000
	v_add_co_u32_e32 v0, vcc, s3, v0
	s_waitcnt vmcnt(7) lgkmcnt(2)
	v_mul_f32_e32 v26, v19, v11
	v_mul_f32_e32 v11, v18, v11
	s_waitcnt vmcnt(6) lgkmcnt(1)
	v_mul_f32_e32 v27, v3, v13
	v_mul_f32_e32 v13, v2, v13
	s_waitcnt vmcnt(5)
	v_mul_f32_e32 v39, v5, v15
	v_mul_f32_e32 v15, v4, v15
	v_fmac_f32_e32 v26, v18, v10
	v_fma_f32 v10, v10, v19, -v11
	v_fmac_f32_e32 v27, v2, v12
	v_fma_f32 v12, v12, v3, -v13
	;; [unrolled: 2-line block ×3, first 2 shown]
	v_cvt_f64_f32_e32 v[2:3], v26
	v_cvt_f64_f32_e32 v[4:5], v10
	;; [unrolled: 1-line block ×3, first 2 shown]
	v_mul_f64 v[2:3], v[2:3], s[0:1]
	v_mul_f64 v[4:5], v[4:5], s[0:1]
	;; [unrolled: 1-line block ×3, first 2 shown]
	v_cvt_f32_f64_e32 v2, v[2:3]
	v_cvt_f32_f64_e32 v3, v[4:5]
	;; [unrolled: 1-line block ×3, first 2 shown]
	global_load_dwordx2 v[12:13], v[36:37], off offset:128
	s_waitcnt vmcnt(5) lgkmcnt(0)
	v_mul_f32_e32 v40, v7, v17
	v_cvt_f64_f32_e32 v[10:11], v27
	v_cvt_f64_f32_e32 v[14:15], v39
	;; [unrolled: 1-line block ×3, first 2 shown]
	v_mul_f64 v[10:11], v[10:11], s[0:1]
	v_mul_f64 v[14:15], v[14:15], s[0:1]
	;; [unrolled: 1-line block ×3, first 2 shown]
	v_fmac_f32_e32 v40, v6, v16
	v_cvt_f32_f64_e32 v4, v[10:11]
	v_cvt_f32_f64_e32 v10, v[14:15]
	;; [unrolled: 1-line block ×3, first 2 shown]
	global_store_dwordx2 v[20:21], v[2:3], off
	global_store_dwordx2 v[22:23], v[4:5], off
	;; [unrolled: 1-line block ×3, first 2 shown]
	v_cvt_f64_f32_e32 v[2:3], v40
	v_mul_f64 v[2:3], v[2:3], s[0:1]
	v_cvt_f32_f64_e32 v2, v[2:3]
	v_mul_f32_e32 v3, v6, v17
	v_fma_f32 v3, v16, v7, -v3
	v_cvt_f64_f32_e32 v[4:5], v3
	v_mul_f64 v[4:5], v[4:5], s[0:1]
	v_mad_u64_u32 v[6:7], s[6:7], s4, v38, v[24:25]
	v_cvt_f32_f64_e32 v3, v[4:5]
	v_add_u32_e32 v7, s2, v7
	global_load_dwordx2 v[10:11], v[36:37], off offset:1168
	global_load_dwordx2 v[16:17], v[36:37], off offset:3248
	v_addc_co_u32_e32 v1, vcc, 0, v1, vcc
	global_store_dwordx2 v[6:7], v[2:3], off
	s_waitcnt vmcnt(10)
	v_mul_f32_e32 v2, v9, v29
	v_fmac_f32_e32 v2, v8, v28
	v_cvt_f64_f32_e32 v[2:3], v2
	v_mul_f64 v[2:3], v[2:3], s[0:1]
	v_cvt_f32_f64_e32 v14, v[2:3]
	v_mul_f32_e32 v2, v8, v29
	v_fma_f32 v2, v28, v9, -v2
	global_load_dwordx2 v[8:9], v[36:37], off offset:2208
	v_cvt_f64_f32_e32 v[2:3], v2
	v_mul_f64 v[2:3], v[2:3], s[0:1]
	v_cvt_f32_f64_e32 v15, v[2:3]
	v_add_u32_e32 v2, 0x1400, v68
	ds_read2_b64 v[2:5], v2 offset0:10 offset1:140
	v_mad_u64_u32 v[6:7], s[6:7], s4, v38, v[6:7]
	v_add_u32_e32 v7, s2, v7
	global_store_dwordx2 v[6:7], v[14:15], off
	s_waitcnt vmcnt(11) lgkmcnt(0)
	v_mul_f32_e32 v14, v3, v35
	v_fmac_f32_e32 v14, v2, v34
	v_mul_f32_e32 v2, v2, v35
	v_fma_f32 v2, v34, v3, -v2
	v_cvt_f64_f32_e32 v[14:15], v14
	v_cvt_f64_f32_e32 v[2:3], v2
	v_mul_f64 v[14:15], v[14:15], s[0:1]
	v_mul_f64 v[2:3], v[2:3], s[0:1]
	v_cvt_f32_f64_e32 v14, v[14:15]
	v_cvt_f32_f64_e32 v15, v[2:3]
	s_waitcnt vmcnt(10)
	v_mul_f32_e32 v2, v5, v31
	v_fmac_f32_e32 v2, v4, v30
	v_mad_u64_u32 v[6:7], s[6:7], s4, v38, v[6:7]
	v_cvt_f64_f32_e32 v[2:3], v2
	v_add_u32_e32 v7, s2, v7
	v_mul_f64 v[2:3], v[2:3], s[0:1]
	global_store_dwordx2 v[6:7], v[14:15], off
	v_cvt_f32_f64_e32 v14, v[2:3]
	v_mul_f32_e32 v2, v4, v31
	v_fma_f32 v2, v30, v5, -v2
	v_cvt_f64_f32_e32 v[2:3], v2
	v_mul_f64 v[2:3], v[2:3], s[0:1]
	v_cvt_f32_f64_e32 v15, v[2:3]
	v_add_u32_e32 v2, 0x1c00, v68
	ds_read2_b64 v[2:5], v2 offset0:14 offset1:144
	v_mad_u64_u32 v[6:7], s[6:7], s4, v38, v[6:7]
	v_add_u32_e32 v7, s2, v7
	global_store_dwordx2 v[6:7], v[14:15], off
	s_waitcnt vmcnt(11) lgkmcnt(0)
	v_mul_f32_e32 v14, v3, v33
	v_fmac_f32_e32 v14, v2, v32
	v_mul_f32_e32 v2, v2, v33
	v_fma_f32 v2, v32, v3, -v2
	v_cvt_f64_f32_e32 v[14:15], v14
	v_cvt_f64_f32_e32 v[2:3], v2
	v_mul_f64 v[14:15], v[14:15], s[0:1]
	v_mul_f64 v[2:3], v[2:3], s[0:1]
	v_cvt_f32_f64_e32 v14, v[14:15]
	v_cvt_f32_f64_e32 v15, v[2:3]
	s_waitcnt vmcnt(10)
	v_mul_f32_e32 v2, v5, v13
	v_fmac_f32_e32 v2, v4, v12
	v_mad_u64_u32 v[6:7], s[6:7], s4, v38, v[6:7]
	v_cvt_f64_f32_e32 v[2:3], v2
	v_add_u32_e32 v7, s2, v7
	v_mul_f64 v[2:3], v[2:3], s[0:1]
	global_store_dwordx2 v[6:7], v[14:15], off
	v_cvt_f32_f64_e32 v14, v[2:3]
	v_mul_f32_e32 v2, v4, v13
	v_fma_f32 v2, v12, v5, -v2
	v_cvt_f64_f32_e32 v[2:3], v2
	v_mul_f64 v[2:3], v[2:3], s[0:1]
	v_cvt_f32_f64_e32 v15, v[2:3]
	v_add_u32_e32 v2, 0x2400, v68
	ds_read2_b64 v[2:5], v2 offset0:18 offset1:148
	v_mad_u64_u32 v[6:7], s[6:7], s4, v38, v[6:7]
	v_add_u32_e32 v7, s2, v7
	global_store_dwordx2 v[6:7], v[14:15], off
	s_waitcnt vmcnt(8) lgkmcnt(0)
	v_mul_f32_e32 v12, v3, v11
	v_fmac_f32_e32 v12, v2, v10
	v_mul_f32_e32 v2, v2, v11
	v_fma_f32 v2, v10, v3, -v2
	v_cvt_f64_f32_e32 v[12:13], v12
	v_cvt_f64_f32_e32 v[2:3], v2
	v_mul_f64 v[12:13], v[12:13], s[0:1]
	v_mul_f64 v[2:3], v[2:3], s[0:1]
	v_cvt_f32_f64_e32 v12, v[12:13]
	v_cvt_f32_f64_e32 v13, v[2:3]
	s_waitcnt vmcnt(5)
	v_mul_f32_e32 v2, v5, v9
	v_fmac_f32_e32 v2, v4, v8
	v_cvt_f64_f32_e32 v[2:3], v2
	v_mul_f64 v[2:3], v[2:3], s[0:1]
	v_cvt_f32_f64_e32 v10, v[2:3]
	v_mul_f32_e32 v2, v4, v9
	v_fma_f32 v2, v8, v5, -v2
	v_cvt_f64_f32_e32 v[2:3], v2
	v_mul_f64 v[2:3], v[2:3], s[0:1]
	v_cvt_f32_f64_e32 v11, v[2:3]
	v_add_u32_e32 v2, 0x2c00, v68
	ds_read2_b64 v[2:5], v2 offset0:22 offset1:152
	v_mad_u64_u32 v[6:7], s[6:7], s4, v38, v[6:7]
	v_add_u32_e32 v7, s2, v7
	global_store_dwordx2 v[6:7], v[12:13], off
	s_waitcnt lgkmcnt(0)
	v_mul_f32_e32 v8, v3, v17
	v_fmac_f32_e32 v8, v2, v16
	v_mul_f32_e32 v2, v2, v17
	v_fma_f32 v2, v16, v3, -v2
	v_mad_u64_u32 v[6:7], s[6:7], s4, v38, v[6:7]
	v_cvt_f64_f32_e32 v[8:9], v8
	v_cvt_f64_f32_e32 v[2:3], v2
	v_add_u32_e32 v7, s2, v7
	v_mul_f64 v[8:9], v[8:9], s[0:1]
	v_mul_f64 v[2:3], v[2:3], s[0:1]
	v_cvt_f32_f64_e32 v8, v[8:9]
	v_cvt_f32_f64_e32 v9, v[2:3]
	v_mad_u64_u32 v[2:3], s[6:7], s4, v38, v[6:7]
	v_add_u32_e32 v3, s2, v3
	global_store_dwordx2 v[6:7], v[10:11], off
	global_store_dwordx2 v[2:3], v[8:9], off
	global_load_dwordx2 v[0:1], v[0:1], off offset:192
	s_waitcnt vmcnt(0)
	v_mul_f32_e32 v6, v5, v1
	v_mul_f32_e32 v1, v4, v1
	v_fmac_f32_e32 v6, v4, v0
	v_fma_f32 v0, v0, v5, -v1
	v_cvt_f64_f32_e32 v[6:7], v6
	v_cvt_f64_f32_e32 v[0:1], v0
	v_mul_f64 v[6:7], v[6:7], s[0:1]
	v_mul_f64 v[0:1], v[0:1], s[0:1]
	v_cvt_f32_f64_e32 v6, v[6:7]
	v_cvt_f32_f64_e32 v7, v[0:1]
	v_mad_u64_u32 v[0:1], s[0:1], s4, v38, v[2:3]
	v_add_u32_e32 v1, s2, v1
	global_store_dwordx2 v[0:1], v[6:7], off
.LBB0_23:
	s_endpgm
	.section	.rodata,"a",@progbits
	.p2align	6, 0x0
	.amdhsa_kernel bluestein_single_back_len1690_dim1_sp_op_CI_CI
		.amdhsa_group_segment_fixed_size 13520
		.amdhsa_private_segment_fixed_size 0
		.amdhsa_kernarg_size 104
		.amdhsa_user_sgpr_count 2
		.amdhsa_user_sgpr_dispatch_ptr 0
		.amdhsa_user_sgpr_queue_ptr 0
		.amdhsa_user_sgpr_kernarg_segment_ptr 1
		.amdhsa_user_sgpr_dispatch_id 0
		.amdhsa_user_sgpr_kernarg_preload_length 0
		.amdhsa_user_sgpr_kernarg_preload_offset 0
		.amdhsa_user_sgpr_private_segment_size 0
		.amdhsa_uses_dynamic_stack 0
		.amdhsa_enable_private_segment 0
		.amdhsa_system_sgpr_workgroup_id_x 1
		.amdhsa_system_sgpr_workgroup_id_y 0
		.amdhsa_system_sgpr_workgroup_id_z 0
		.amdhsa_system_sgpr_workgroup_info 0
		.amdhsa_system_vgpr_workitem_id 0
		.amdhsa_next_free_vgpr 222
		.amdhsa_next_free_sgpr 50
		.amdhsa_accum_offset 224
		.amdhsa_reserve_vcc 1
		.amdhsa_float_round_mode_32 0
		.amdhsa_float_round_mode_16_64 0
		.amdhsa_float_denorm_mode_32 3
		.amdhsa_float_denorm_mode_16_64 3
		.amdhsa_dx10_clamp 1
		.amdhsa_ieee_mode 1
		.amdhsa_fp16_overflow 0
		.amdhsa_tg_split 0
		.amdhsa_exception_fp_ieee_invalid_op 0
		.amdhsa_exception_fp_denorm_src 0
		.amdhsa_exception_fp_ieee_div_zero 0
		.amdhsa_exception_fp_ieee_overflow 0
		.amdhsa_exception_fp_ieee_underflow 0
		.amdhsa_exception_fp_ieee_inexact 0
		.amdhsa_exception_int_div_zero 0
	.end_amdhsa_kernel
	.text
.Lfunc_end0:
	.size	bluestein_single_back_len1690_dim1_sp_op_CI_CI, .Lfunc_end0-bluestein_single_back_len1690_dim1_sp_op_CI_CI
                                        ; -- End function
	.section	.AMDGPU.csdata,"",@progbits
; Kernel info:
; codeLenInByte = 16724
; NumSgprs: 56
; NumVgprs: 222
; NumAgprs: 0
; TotalNumVgprs: 222
; ScratchSize: 0
; MemoryBound: 0
; FloatMode: 240
; IeeeMode: 1
; LDSByteSize: 13520 bytes/workgroup (compile time only)
; SGPRBlocks: 6
; VGPRBlocks: 27
; NumSGPRsForWavesPerEU: 56
; NumVGPRsForWavesPerEU: 222
; AccumOffset: 224
; Occupancy: 2
; WaveLimiterHint : 1
; COMPUTE_PGM_RSRC2:SCRATCH_EN: 0
; COMPUTE_PGM_RSRC2:USER_SGPR: 2
; COMPUTE_PGM_RSRC2:TRAP_HANDLER: 0
; COMPUTE_PGM_RSRC2:TGID_X_EN: 1
; COMPUTE_PGM_RSRC2:TGID_Y_EN: 0
; COMPUTE_PGM_RSRC2:TGID_Z_EN: 0
; COMPUTE_PGM_RSRC2:TIDIG_COMP_CNT: 0
; COMPUTE_PGM_RSRC3_GFX90A:ACCUM_OFFSET: 55
; COMPUTE_PGM_RSRC3_GFX90A:TG_SPLIT: 0
	.text
	.p2alignl 6, 3212836864
	.fill 256, 4, 3212836864
	.type	__hip_cuid_6f2e0fdc60e20c17,@object ; @__hip_cuid_6f2e0fdc60e20c17
	.section	.bss,"aw",@nobits
	.globl	__hip_cuid_6f2e0fdc60e20c17
__hip_cuid_6f2e0fdc60e20c17:
	.byte	0                               ; 0x0
	.size	__hip_cuid_6f2e0fdc60e20c17, 1

	.ident	"AMD clang version 19.0.0git (https://github.com/RadeonOpenCompute/llvm-project roc-6.4.0 25133 c7fe45cf4b819c5991fe208aaa96edf142730f1d)"
	.section	".note.GNU-stack","",@progbits
	.addrsig
	.addrsig_sym __hip_cuid_6f2e0fdc60e20c17
	.amdgpu_metadata
---
amdhsa.kernels:
  - .agpr_count:     0
    .args:
      - .actual_access:  read_only
        .address_space:  global
        .offset:         0
        .size:           8
        .value_kind:     global_buffer
      - .actual_access:  read_only
        .address_space:  global
        .offset:         8
        .size:           8
        .value_kind:     global_buffer
      - .actual_access:  read_only
        .address_space:  global
        .offset:         16
        .size:           8
        .value_kind:     global_buffer
      - .actual_access:  read_only
        .address_space:  global
        .offset:         24
        .size:           8
        .value_kind:     global_buffer
      - .actual_access:  read_only
        .address_space:  global
        .offset:         32
        .size:           8
        .value_kind:     global_buffer
      - .offset:         40
        .size:           8
        .value_kind:     by_value
      - .address_space:  global
        .offset:         48
        .size:           8
        .value_kind:     global_buffer
      - .address_space:  global
        .offset:         56
        .size:           8
        .value_kind:     global_buffer
      - .address_space:  global
        .offset:         64
        .size:           8
        .value_kind:     global_buffer
      - .address_space:  global
        .offset:         72
        .size:           8
        .value_kind:     global_buffer
      - .offset:         80
        .size:           4
        .value_kind:     by_value
      - .address_space:  global
        .offset:         88
        .size:           8
        .value_kind:     global_buffer
      - .address_space:  global
        .offset:         96
        .size:           8
        .value_kind:     global_buffer
    .group_segment_fixed_size: 13520
    .kernarg_segment_align: 8
    .kernarg_segment_size: 104
    .language:       OpenCL C
    .language_version:
      - 2
      - 0
    .max_flat_workgroup_size: 169
    .name:           bluestein_single_back_len1690_dim1_sp_op_CI_CI
    .private_segment_fixed_size: 0
    .sgpr_count:     56
    .sgpr_spill_count: 0
    .symbol:         bluestein_single_back_len1690_dim1_sp_op_CI_CI.kd
    .uniform_work_group_size: 1
    .uses_dynamic_stack: false
    .vgpr_count:     222
    .vgpr_spill_count: 0
    .wavefront_size: 64
amdhsa.target:   amdgcn-amd-amdhsa--gfx950
amdhsa.version:
  - 1
  - 2
...

	.end_amdgpu_metadata
